;; amdgpu-corpus repo=ROCm/rocFFT kind=compiled arch=gfx1201 opt=O3
	.text
	.amdgcn_target "amdgcn-amd-amdhsa--gfx1201"
	.amdhsa_code_object_version 6
	.protected	bluestein_single_fwd_len1815_dim1_dp_op_CI_CI ; -- Begin function bluestein_single_fwd_len1815_dim1_dp_op_CI_CI
	.globl	bluestein_single_fwd_len1815_dim1_dp_op_CI_CI
	.p2align	8
	.type	bluestein_single_fwd_len1815_dim1_dp_op_CI_CI,@function
bluestein_single_fwd_len1815_dim1_dp_op_CI_CI: ; @bluestein_single_fwd_len1815_dim1_dp_op_CI_CI
; %bb.0:
	s_load_b128 s[16:19], s[0:1], 0x28
	v_mul_u32_u24_e32 v1, 0x18e, v0
	s_mov_b32 s2, exec_lo
	v_mov_b32_e32 v6, 0
	s_delay_alu instid0(VALU_DEP_2) | instskip(NEXT) | instid1(VALU_DEP_1)
	v_lshrrev_b32_e32 v1, 16, v1
	v_add_nc_u32_e32 v5, ttmp9, v1
	s_wait_kmcnt 0x0
	s_delay_alu instid0(VALU_DEP_1)
	v_cmpx_gt_u64_e64 s[16:17], v[5:6]
	s_cbranch_execz .LBB0_18
; %bb.1:
	s_clause 0x1
	s_load_b128 s[4:7], s[0:1], 0x18
	s_load_b128 s[8:11], s[0:1], 0x0
	v_mul_lo_u16 v1, 0xa5, v1
	s_mov_b32 s24, 0xf8bb580b
	s_mov_b32 s25, 0xbfe14ced
	;; [unrolled: 1-line block ×4, first 2 shown]
	v_sub_nc_u16 v0, v0, v1
	s_mov_b32 s22, 0x43842ef
	s_mov_b32 s23, 0xbfefac9e
	;; [unrolled: 1-line block ×3, first 2 shown]
	s_delay_alu instid0(VALU_DEP_1)
	v_dual_mov_b32 v6, v5 :: v_dual_and_b32 v43, 0xffff, v0
	s_mov_b32 s27, 0xbfe82f19
	s_mov_b32 s28, 0xfd768dbf
	;; [unrolled: 1-line block ×3, first 2 shown]
	scratch_store_b64 off, v[6:7], off offset:164 ; 8-byte Folded Spill
	s_mov_b32 s31, 0x3fe14ced
	s_mov_b32 s30, s24
	;; [unrolled: 1-line block ×3, first 2 shown]
	s_wait_kmcnt 0x0
	s_load_b128 s[12:15], s[4:5], 0x0
	s_mov_b32 s35, 0x3fd207e7
	s_mov_b32 s34, s28
	;; [unrolled: 1-line block ×5, first 2 shown]
	v_lshlrev_b32_e32 v255, 4, v43
	s_clause 0x7
	global_load_b128 v[27:30], v255, s[8:9]
	global_load_b128 v[31:34], v255, s[8:9] offset:2640
	global_load_b128 v[35:38], v255, s[8:9] offset:5280
	;; [unrolled: 1-line block ×7, first 2 shown]
	s_wait_kmcnt 0x0
	v_mad_co_u64_u32 v[1:2], null, s14, v5, 0
	v_mad_co_u64_u32 v[3:4], null, s12, v43, 0
	s_mul_u64 s[2:3], s[12:13], 0xa50
	s_delay_alu instid0(VALU_DEP_1) | instskip(SKIP_2) | instid1(VALU_DEP_1)
	v_mad_co_u64_u32 v[5:6], null, s15, v5, v[2:3]
	s_mov_b32 s14, 0x640f44db
	s_mov_b32 s15, 0xbfc2375f
	v_mad_co_u64_u32 v[6:7], null, s13, v43, v[4:5]
	v_mov_b32_e32 v2, v5
	s_mov_b32 s12, 0xd9c712b6
	s_mov_b32 s13, 0x3fda9628
	s_delay_alu instid0(VALU_DEP_1) | instskip(NEXT) | instid1(VALU_DEP_3)
	v_lshlrev_b64_e32 v[1:2], 4, v[1:2]
	v_mov_b32_e32 v4, v6
	s_delay_alu instid0(VALU_DEP_2) | instskip(NEXT) | instid1(VALU_DEP_2)
	v_add_co_u32 v1, vcc_lo, s18, v1
	v_lshlrev_b64_e32 v[3:4], 4, v[3:4]
	s_delay_alu instid0(VALU_DEP_4) | instskip(SKIP_2) | instid1(VALU_DEP_2)
	v_add_co_ci_u32_e32 v2, vcc_lo, s19, v2, vcc_lo
	s_mov_b32 s18, 0x9bcd5057
	s_mov_b32 s19, 0xbfeeb42a
	v_add_co_u32 v1, vcc_lo, v1, v3
	s_wait_alu 0xfffd
	v_add_co_ci_u32_e32 v2, vcc_lo, v2, v4, vcc_lo
	s_delay_alu instid0(VALU_DEP_2) | instskip(SKIP_1) | instid1(VALU_DEP_2)
	v_add_co_u32 v5, vcc_lo, v1, s2
	s_wait_alu 0xfffd
	v_add_co_ci_u32_e32 v6, vcc_lo, s3, v2, vcc_lo
	s_delay_alu instid0(VALU_DEP_2) | instskip(SKIP_1) | instid1(VALU_DEP_2)
	v_add_co_u32 v9, vcc_lo, v5, s2
	s_wait_alu 0xfffd
	v_add_co_ci_u32_e32 v10, vcc_lo, s3, v6, vcc_lo
	s_clause 0x1
	global_load_b128 v[1:4], v[1:2], off
	global_load_b128 v[5:8], v[5:6], off
	v_add_co_u32 v13, vcc_lo, v9, s2
	s_wait_alu 0xfffd
	v_add_co_ci_u32_e32 v14, vcc_lo, s3, v10, vcc_lo
	s_delay_alu instid0(VALU_DEP_2) | instskip(SKIP_1) | instid1(VALU_DEP_2)
	v_add_co_u32 v17, vcc_lo, v13, s2
	s_wait_alu 0xfffd
	v_add_co_ci_u32_e32 v18, vcc_lo, s3, v14, vcc_lo
	s_clause 0x1
	global_load_b128 v[9:12], v[9:10], off
	global_load_b128 v[13:16], v[13:14], off
	v_add_co_u32 v19, vcc_lo, v17, s2
	s_wait_alu 0xfffd
	v_add_co_ci_u32_e32 v20, vcc_lo, s3, v18, vcc_lo
	global_load_b128 v[44:47], v[17:18], off
	v_add_co_u32 v17, vcc_lo, v19, s2
	s_wait_alu 0xfffd
	v_add_co_ci_u32_e32 v18, vcc_lo, s3, v20, vcc_lo
	global_load_b128 v[48:51], v[19:20], off
	v_add_co_u32 v19, vcc_lo, v17, s2
	s_wait_alu 0xfffd
	v_add_co_ci_u32_e32 v20, vcc_lo, s3, v18, vcc_lo
	global_load_b128 v[52:55], v[17:18], off
	v_add_co_u32 v17, vcc_lo, v19, s2
	s_wait_alu 0xfffd
	v_add_co_ci_u32_e32 v18, vcc_lo, s3, v20, vcc_lo
	global_load_b128 v[56:59], v[19:20], off
	v_add_co_u32 v19, vcc_lo, v17, s2
	s_wait_alu 0xfffd
	v_add_co_ci_u32_e32 v20, vcc_lo, s3, v18, vcc_lo
	global_load_b128 v[60:63], v[17:18], off
	v_add_co_u32 v17, vcc_lo, v19, s2
	s_wait_alu 0xfffd
	v_add_co_ci_u32_e32 v18, vcc_lo, s3, v20, vcc_lo
	s_clause 0x1
	global_load_b128 v[126:129], v255, s[8:9] offset:21120
	global_load_b128 v[122:125], v255, s[8:9] offset:23760
	global_load_b128 v[64:67], v[19:20], off
	global_load_b128 v[130:133], v255, s[8:9] offset:26400
	global_load_b128 v[68:71], v[17:18], off
	s_load_b128 s[4:7], s[6:7], 0x0
	s_mov_b32 s2, 0x8764f0ba
	s_mov_b32 s3, 0x3feaeb8c
	s_wait_loadcnt 0x15
	scratch_store_b128 off, v[27:30], off offset:48 ; 16-byte Folded Spill
	s_wait_loadcnt 0x14
	scratch_store_b128 off, v[31:34], off offset:64 ; 16-byte Folded Spill
	;; [unrolled: 2-line block ×8, first 2 shown]
	s_wait_loadcnt 0xd
	v_mul_f64_e32 v[17:18], v[3:4], v[29:30]
	v_mul_f64_e32 v[19:20], v[1:2], v[29:30]
	s_wait_loadcnt 0xc
	v_mul_f64_e32 v[21:22], v[7:8], v[33:34]
	v_mul_f64_e32 v[23:24], v[5:6], v[33:34]
	;; [unrolled: 3-line block ×11, first 2 shown]
	v_fma_f64 v[1:2], v[1:2], v[27:28], v[17:18]
	v_fma_f64 v[3:4], v[3:4], v[27:28], -v[19:20]
	v_fma_f64 v[5:6], v[5:6], v[31:32], v[21:22]
	v_fma_f64 v[7:8], v[7:8], v[31:32], -v[23:24]
	s_clause 0x1
	scratch_store_b128 off, v[126:129], off offset:204
	scratch_store_b128 off, v[122:125], off offset:188
	v_fma_f64 v[9:10], v[9:10], v[35:36], v[25:26]
	v_fma_f64 v[11:12], v[11:12], v[35:36], -v[72:73]
	v_fma_f64 v[13:14], v[13:14], v[39:40], v[74:75]
	v_fma_f64 v[15:16], v[15:16], v[39:40], -v[76:77]
	scratch_store_b128 off, v[130:133], off offset:220 ; 16-byte Folded Spill
	v_fma_f64 v[44:45], v[44:45], v[106:107], v[78:79]
	v_fma_f64 v[46:47], v[46:47], v[106:107], -v[80:81]
	v_fma_f64 v[48:49], v[48:49], v[110:111], v[82:83]
	v_fma_f64 v[50:51], v[50:51], v[110:111], -v[84:85]
	;; [unrolled: 2-line block ×7, first 2 shown]
	ds_store_b128 v255, v[1:4]
	ds_store_b128 v255, v[5:8] offset:2640
	ds_store_b128 v255, v[9:12] offset:5280
	;; [unrolled: 1-line block ×10, first 2 shown]
	global_wb scope:SCOPE_SE
	s_wait_storecnt_dscnt 0x0
	s_wait_kmcnt 0x0
	s_barrier_signal -1
	s_barrier_wait -1
	global_inv scope:SCOPE_SE
	ds_load_b128 v[48:51], v255
	ds_load_b128 v[1:4], v255 offset:2640
	ds_load_b128 v[44:47], v255 offset:26400
	;; [unrolled: 1-line block ×10, first 2 shown]
	global_wb scope:SCOPE_SE
	s_wait_dscnt 0x0
	s_barrier_signal -1
	s_barrier_wait -1
	global_inv scope:SCOPE_SE
	v_add_f64_e32 v[17:18], v[48:49], v[1:2]
	v_add_f64_e32 v[19:20], v[50:51], v[3:4]
	v_add_f64_e64 v[21:22], v[3:4], -v[46:47]
	v_add_f64_e64 v[23:24], v[1:2], -v[44:45]
	v_add_f64_e64 v[74:75], v[11:12], -v[58:59]
	v_add_f64_e64 v[76:77], v[9:10], -v[56:57]
	v_add_f64_e32 v[78:79], v[9:10], v[56:57]
	v_add_f64_e32 v[80:81], v[11:12], v[58:59]
	v_add_f64_e64 v[25:26], v[7:8], -v[54:55]
	v_add_f64_e64 v[72:73], v[5:6], -v[52:53]
	v_add_f64_e32 v[1:2], v[1:2], v[44:45]
	v_add_f64_e32 v[3:4], v[3:4], v[46:47]
	v_add_f64_e64 v[94:95], v[68:69], -v[64:65]
	v_add_f64_e32 v[82:83], v[13:14], v[60:61]
	v_add_f64_e64 v[84:85], v[15:16], -v[62:63]
	v_add_f64_e64 v[86:87], v[13:14], -v[60:61]
	v_add_f64_e32 v[88:89], v[15:16], v[62:63]
	v_add_f64_e64 v[96:97], v[70:71], -v[66:67]
	v_add_f64_e32 v[90:91], v[68:69], v[64:65]
	v_add_f64_e32 v[92:93], v[70:71], v[66:67]
	;; [unrolled: 1-line block ×4, first 2 shown]
	v_mul_f64_e32 v[98:99], s[24:25], v[21:22]
	v_mul_f64_e32 v[100:101], s[24:25], v[23:24]
	;; [unrolled: 1-line block ×12, first 2 shown]
	s_mov_b32 s21, 0x3fed1bb4
	v_add_f64_e32 v[5:6], v[5:6], v[52:53]
	v_add_f64_e32 v[7:8], v[7:8], v[54:55]
	v_mul_f64_e32 v[118:119], s[26:27], v[25:26]
	v_mul_f64_e32 v[120:121], s[26:27], v[72:73]
	;; [unrolled: 1-line block ×16, first 2 shown]
	s_wait_alu 0xfffe
	v_mul_f64_e32 v[74:75], s[20:21], v[74:75]
	v_mul_f64_e32 v[76:77], s[20:21], v[76:77]
	;; [unrolled: 1-line block ×5, first 2 shown]
	v_add_f64_e32 v[9:10], v[17:18], v[9:10]
	v_add_f64_e32 v[11:12], v[19:20], v[11:12]
	v_mul_f64_e32 v[17:18], s[34:35], v[25:26]
	v_mul_f64_e32 v[19:20], s[34:35], v[72:73]
	v_fma_f64 v[174:175], v[1:2], s[12:13], -v[102:103]
	v_fma_f64 v[176:177], v[3:4], s[12:13], v[104:105]
	v_fma_f64 v[102:103], v[1:2], s[12:13], v[102:103]
	v_fma_f64 v[178:179], v[1:2], s[14:15], -v[106:107]
	v_fma_f64 v[180:181], v[3:4], s[14:15], v[108:109]
	v_fma_f64 v[106:107], v[1:2], s[14:15], v[106:107]
	v_fma_f64 v[182:183], v[1:2], s[16:17], -v[110:111]
	v_fma_f64 v[184:185], v[3:4], s[16:17], v[112:113]
	v_mul_f64_e32 v[25:26], s[30:31], v[25:26]
	v_mul_f64_e32 v[72:73], s[30:31], v[72:73]
	v_fma_f64 v[110:111], v[1:2], s[16:17], v[110:111]
	v_fma_f64 v[186:187], v[1:2], s[18:19], -v[21:22]
	v_fma_f64 v[188:189], v[3:4], s[18:19], v[23:24]
	v_fma_f64 v[104:105], v[3:4], s[12:13], -v[104:105]
	v_fma_f64 v[108:109], v[3:4], s[14:15], -v[108:109]
	;; [unrolled: 1-line block ×4, first 2 shown]
	v_fma_f64 v[192:193], v[7:8], s[16:17], v[120:121]
	v_fma_f64 v[118:119], v[5:6], s[16:17], v[118:119]
	v_fma_f64 v[198:199], v[5:6], s[14:15], -v[122:123]
	v_fma_f64 v[200:201], v[7:8], s[14:15], v[124:125]
	v_fma_f64 v[122:123], v[5:6], s[14:15], v[122:123]
	v_fma_f64 v[120:121], v[7:8], s[16:17], -v[120:121]
	v_mul_f64_e32 v[148:149], s[36:37], v[86:87]
	v_mul_f64_e32 v[150:151], s[24:25], v[84:85]
	;; [unrolled: 1-line block ×8, first 2 shown]
	v_fma_f64 v[202:203], v[78:79], s[18:19], -v[130:131]
	v_fma_f64 v[204:205], v[80:81], s[18:19], v[132:133]
	v_fma_f64 v[130:131], v[78:79], s[18:19], v[130:131]
	v_add_f64_e32 v[9:10], v[9:10], v[13:14]
	v_add_f64_e32 v[11:12], v[11:12], v[15:16]
	v_mul_f64_e32 v[13:14], s[20:21], v[94:95]
	v_fma_f64 v[15:16], v[1:2], s[2:3], -v[98:99]
	v_fma_f64 v[94:95], v[3:4], s[2:3], v[100:101]
	v_fma_f64 v[98:99], v[1:2], s[2:3], v[98:99]
	v_fma_f64 v[100:101], v[3:4], s[2:3], -v[100:101]
	v_fma_f64 v[1:2], v[1:2], s[18:19], v[21:22]
	v_fma_f64 v[3:4], v[3:4], s[18:19], -v[23:24]
	v_fma_f64 v[21:22], v[5:6], s[12:13], -v[114:115]
	v_fma_f64 v[23:24], v[7:8], s[12:13], v[116:117]
	v_fma_f64 v[114:115], v[5:6], s[12:13], v[114:115]
	v_fma_f64 v[116:117], v[7:8], s[12:13], -v[116:117]
	v_add_f64_e32 v[174:175], v[48:49], v[174:175]
	v_add_f64_e32 v[176:177], v[50:51], v[176:177]
	v_fma_f64 v[194:195], v[5:6], s[18:19], -v[17:18]
	v_fma_f64 v[196:197], v[7:8], s[18:19], v[19:20]
	v_add_f64_e32 v[102:103], v[48:49], v[102:103]
	v_add_f64_e32 v[178:179], v[48:49], v[178:179]
	;; [unrolled: 1-line block ×3, first 2 shown]
	v_fma_f64 v[17:18], v[5:6], s[18:19], v[17:18]
	v_add_f64_e32 v[106:107], v[48:49], v[106:107]
	v_add_f64_e32 v[182:183], v[48:49], v[182:183]
	;; [unrolled: 1-line block ×6, first 2 shown]
	v_fma_f64 v[19:20], v[7:8], s[18:19], -v[19:20]
	v_add_f64_e32 v[108:109], v[50:51], v[108:109]
	v_add_f64_e32 v[104:105], v[50:51], v[104:105]
	v_fma_f64 v[132:133], v[80:81], s[18:19], -v[132:133]
	v_fma_f64 v[206:207], v[78:79], s[2:3], -v[134:135]
	v_fma_f64 v[208:209], v[80:81], s[2:3], v[136:137]
	v_fma_f64 v[134:135], v[78:79], s[2:3], v[134:135]
	v_fma_f64 v[136:137], v[80:81], s[2:3], -v[136:137]
	v_fma_f64 v[214:215], v[78:79], s[12:13], -v[74:75]
	v_fma_f64 v[74:75], v[78:79], s[12:13], v[74:75]
	v_mul_f64_e32 v[162:163], s[30:31], v[96:97]
	v_add_f64_e32 v[9:10], v[9:10], v[68:69]
	v_add_f64_e32 v[11:12], v[11:12], v[70:71]
	v_fma_f64 v[68:69], v[7:8], s[14:15], -v[124:125]
	v_add_f64_e32 v[15:16], v[48:49], v[15:16]
	v_fma_f64 v[70:71], v[5:6], s[2:3], -v[25:26]
	v_add_f64_e32 v[98:99], v[48:49], v[98:99]
	v_add_f64_e32 v[100:101], v[50:51], v[100:101]
	v_fma_f64 v[124:125], v[7:8], s[2:3], v[72:73]
	v_fma_f64 v[5:6], v[5:6], s[2:3], v[25:26]
	v_fma_f64 v[7:8], v[7:8], s[2:3], -v[72:73]
	v_add_f64_e32 v[1:2], v[48:49], v[1:2]
	v_add_f64_e32 v[3:4], v[50:51], v[3:4]
	;; [unrolled: 1-line block ×4, first 2 shown]
	v_fma_f64 v[25:26], v[78:79], s[14:15], -v[126:127]
	v_fma_f64 v[72:73], v[80:81], s[14:15], v[128:129]
	v_fma_f64 v[126:127], v[78:79], s[14:15], v[126:127]
	v_fma_f64 v[128:129], v[80:81], s[14:15], -v[128:129]
	v_fma_f64 v[94:95], v[78:79], s[16:17], v[138:139]
	v_fma_f64 v[112:113], v[80:81], s[16:17], -v[140:141]
	v_add_f64_e32 v[102:103], v[118:119], v[102:103]
	v_add_f64_e32 v[17:18], v[17:18], v[106:107]
	v_add_f64_e32 v[106:107], v[198:199], v[182:183]
	v_add_f64_e32 v[118:119], v[200:201], v[184:185]
	v_add_f64_e32 v[110:111], v[122:123], v[110:111]
	v_mul_f64_e32 v[166:167], s[26:27], v[96:97]
	v_mul_f64_e32 v[170:171], s[22:23], v[96:97]
	;; [unrolled: 1-line block ×3, first 2 shown]
	v_fma_f64 v[210:211], v[82:83], s[14:15], -v[146:147]
	v_fma_f64 v[212:213], v[88:89], s[14:15], v[148:149]
	v_fma_f64 v[146:147], v[82:83], s[14:15], v[146:147]
	v_fma_f64 v[148:149], v[88:89], s[14:15], -v[148:149]
	v_add_f64_e32 v[9:10], v[9:10], v[64:65]
	v_add_f64_e32 v[11:12], v[11:12], v[66:67]
	v_fma_f64 v[64:65], v[78:79], s[16:17], -v[138:139]
	v_fma_f64 v[66:67], v[80:81], s[16:17], v[140:141]
	v_fma_f64 v[78:79], v[80:81], s[12:13], v[76:77]
	v_fma_f64 v[76:77], v[80:81], s[12:13], -v[76:77]
	v_add_f64_e32 v[15:16], v[21:22], v[15:16]
	v_add_f64_e32 v[21:22], v[114:115], v[98:99]
	;; [unrolled: 1-line block ×15, first 2 shown]
	v_fma_f64 v[138:139], v[82:83], s[16:17], -v[142:143]
	v_fma_f64 v[140:141], v[88:89], s[16:17], v[144:145]
	v_fma_f64 v[142:143], v[82:83], s[16:17], v[142:143]
	v_fma_f64 v[144:145], v[88:89], s[16:17], -v[144:145]
	v_fma_f64 v[48:49], v[82:83], s[2:3], -v[150:151]
	v_fma_f64 v[50:51], v[88:89], s[2:3], v[152:153]
	v_fma_f64 v[68:69], v[82:83], s[18:19], -v[154:155]
	v_fma_f64 v[104:105], v[88:89], s[18:19], v[156:157]
	v_fma_f64 v[108:109], v[82:83], s[18:19], v[154:155]
	v_fma_f64 v[120:121], v[88:89], s[18:19], -v[156:157]
	v_fma_f64 v[124:125], v[90:91], s[18:19], -v[158:159]
	;; [unrolled: 1-line block ×3, first 2 shown]
	v_add_f64_e32 v[17:18], v[74:75], v[17:18]
	v_add_f64_e32 v[74:75], v[206:207], v[106:107]
	v_fma_f64 v[106:107], v[92:93], s[16:17], v[168:169]
	v_fma_f64 v[154:155], v[92:93], s[18:19], -v[160:161]
	v_add_f64_e32 v[9:10], v[9:10], v[60:61]
	v_add_f64_e32 v[11:12], v[11:12], v[62:63]
	v_fma_f64 v[60:61], v[82:83], s[2:3], v[150:151]
	v_fma_f64 v[62:63], v[88:89], s[2:3], -v[152:153]
	v_fma_f64 v[152:153], v[90:91], s[18:19], v[158:159]
	v_fma_f64 v[158:159], v[88:89], s[12:13], v[86:87]
	;; [unrolled: 1-line block ×3, first 2 shown]
	v_fma_f64 v[84:85], v[88:89], s[12:13], -v[86:87]
	v_add_f64_e32 v[15:16], v[25:26], v[15:16]
	v_add_f64_e32 v[21:22], v[126:127], v[21:22]
	;; [unrolled: 1-line block ×18, first 2 shown]
	v_fma_f64 v[70:71], v[90:91], s[2:3], v[162:163]
	v_fma_f64 v[76:77], v[90:91], s[16:17], -v[166:167]
	v_fma_f64 v[110:111], v[90:91], s[16:17], v[166:167]
	v_fma_f64 v[114:115], v[90:91], s[14:15], -v[170:171]
	v_fma_f64 v[118:119], v[90:91], s[14:15], v[170:171]
	v_fma_f64 v[126:127], v[90:91], s[12:13], -v[96:97]
	v_fma_f64 v[128:129], v[92:93], s[12:13], v[13:14]
	v_fma_f64 v[116:117], v[92:93], s[14:15], v[172:173]
	v_fma_f64 v[122:123], v[92:93], s[14:15], -v[172:173]
	v_fma_f64 v[112:113], v[92:93], s[16:17], -v[168:169]
	;; [unrolled: 1-line block ×3, first 2 shown]
	v_fma_f64 v[150:151], v[92:93], s[18:19], v[160:161]
	v_add_f64_e32 v[9:10], v[9:10], v[56:57]
	v_add_f64_e32 v[11:12], v[11:12], v[58:59]
	v_fma_f64 v[56:57], v[90:91], s[2:3], -v[162:163]
	v_fma_f64 v[58:59], v[92:93], s[2:3], v[164:165]
	v_fma_f64 v[90:91], v[90:91], s[12:13], v[96:97]
	v_fma_f64 v[96:97], v[92:93], s[12:13], -v[13:14]
	v_add_f64_e32 v[17:18], v[60:61], v[17:18]
	v_add_f64_e32 v[60:61], v[68:69], v[74:75]
	;; [unrolled: 1-line block ×20, first 2 shown]
	s_load_b64 s[2:3], s[0:1], 0x38
	v_cmp_gt_u16_e64 s0, 0x6e, v0
                                        ; implicit-def: $vgpr120_vgpr121
	v_add_f64_e32 v[98:99], v[9:10], v[52:53]
	v_add_f64_e32 v[100:101], v[11:12], v[54:55]
	;; [unrolled: 1-line block ×22, first 2 shown]
	v_mul_lo_u16 v17, v0, 11
	s_delay_alu instid0(VALU_DEP_1) | instskip(NEXT) | instid1(VALU_DEP_1)
	v_and_b32_e32 v17, 0xffff, v17
	v_lshlrev_b32_e32 v224, 4, v17
	v_add_f64_e32 v[44:45], v[98:99], v[44:45]
	v_add_f64_e32 v[46:47], v[100:101], v[46:47]
	ds_store_b128 v224, v[5:8] offset:32
	ds_store_b128 v224, v[9:12] offset:48
	;; [unrolled: 1-line block ×9, first 2 shown]
	ds_store_b128 v224, v[44:47]
	ds_store_b128 v224, v[1:4] offset:16
	global_wb scope:SCOPE_SE
	s_wait_dscnt 0x0
	s_wait_kmcnt 0x0
	s_barrier_signal -1
	s_barrier_wait -1
	global_inv scope:SCOPE_SE
	ds_load_b128 v[44:47], v255
	ds_load_b128 v[68:71], v255 offset:2640
	ds_load_b128 v[96:99], v255 offset:19360
	;; [unrolled: 1-line block ×8, first 2 shown]
	s_and_saveexec_b32 s1, s0
	s_cbranch_execz .LBB0_3
; %bb.2:
	ds_load_b128 v[48:51], v255 offset:7920
	ds_load_b128 v[92:95], v255 offset:17600
	;; [unrolled: 1-line block ×3, first 2 shown]
.LBB0_3:
	s_wait_alu 0xfffe
	s_or_b32 exec_lo, exec_lo, s1
	v_and_b32_e32 v0, 0xff, v43
	v_add_co_u32 v8, null, 0xa5, v43
	v_add_nc_u16 v9, v43, 0x14a
	v_add_nc_u16 v3, v43, 0x1ef
	s_delay_alu instid0(VALU_DEP_4) | instskip(NEXT) | instid1(VALU_DEP_4)
	v_mul_lo_u16 v0, 0x75, v0
	v_and_b32_e32 v11, 0xffff, v8
	s_mov_b32 s12, 0xe8584caa
	v_and_b32_e32 v10, 0xffff, v9
	s_mov_b32 s13, 0x3febb67a
	v_lshrrev_b16 v0, 8, v0
	v_mul_u32_u24_e32 v2, 0xba2f, v11
	s_mov_b32 s15, 0xbfebb67a
	v_mul_u32_u24_e32 v4, 0xba2f, v10
	s_wait_alu 0xfffe
	s_mov_b32 s14, s12
	v_sub_nc_u16 v1, v43, v0
	v_lshrrev_b32_e32 v28, 19, v2
	v_and_b32_e32 v2, 0xffff, v3
	v_lshrrev_b32_e32 v29, 19, v4
	s_delay_alu instid0(VALU_DEP_4) | instskip(NEXT) | instid1(VALU_DEP_4)
	v_lshrrev_b16 v1, 1, v1
	v_mul_lo_u16 v4, v28, 11
	s_delay_alu instid0(VALU_DEP_2) | instskip(NEXT) | instid1(VALU_DEP_2)
	v_and_b32_e32 v1, 0x7f, v1
	v_sub_nc_u16 v30, v8, v4
	s_delay_alu instid0(VALU_DEP_2) | instskip(SKIP_2) | instid1(VALU_DEP_3)
	v_add_nc_u16 v0, v1, v0
	v_mul_u32_u24_e32 v1, 0xba2f, v2
	v_mul_lo_u16 v2, v29, 11
	v_lshrrev_b16 v31, 3, v0
	s_delay_alu instid0(VALU_DEP_3) | instskip(NEXT) | instid1(VALU_DEP_3)
	v_lshrrev_b32_e32 v4, 19, v1
	v_sub_nc_u16 v32, v9, v2
	v_lshlrev_b16 v0, 1, v30
	s_delay_alu instid0(VALU_DEP_4) | instskip(NEXT) | instid1(VALU_DEP_4)
	v_mul_lo_u16 v1, v31, 11
	v_mul_lo_u16 v2, v4, 11
	s_delay_alu instid0(VALU_DEP_3) | instskip(NEXT) | instid1(VALU_DEP_3)
	v_and_b32_e32 v0, 0xffff, v0
	v_sub_nc_u16 v1, v43, v1
	s_delay_alu instid0(VALU_DEP_3)
	v_sub_nc_u16 v3, v3, v2
	scratch_store_b32 off, v4, off offset:236 ; 4-byte Folded Spill
	v_lshlrev_b16 v4, 1, v32
	v_lshlrev_b32_e32 v0, 4, v0
	v_and_b32_e32 v33, 0xff, v1
	scratch_store_b32 off, v3, off offset:240 ; 4-byte Folded Spill
	v_lshlrev_b16 v1, 1, v3
	v_and_b32_e32 v2, 0xffff, v4
	s_clause 0x1
	global_load_b128 v[56:59], v0, s[10:11]
	global_load_b128 v[72:75], v0, s[10:11] offset:16
	v_lshlrev_b32_e32 v3, 5, v33
	v_and_b32_e32 v0, 0xffff, v1
	v_lshlrev_b32_e32 v2, 4, v2
	s_clause 0x3
	global_load_b128 v[64:67], v2, s[10:11]
	global_load_b128 v[60:63], v2, s[10:11] offset:16
	global_load_b128 v[88:91], v3, s[10:11]
	global_load_b128 v[84:87], v3, s[10:11] offset:16
	v_lshlrev_b32_e32 v0, 4, v0
	s_clause 0x1
	global_load_b128 v[80:83], v0, s[10:11]
	global_load_b128 v[76:79], v0, s[10:11] offset:16
	global_wb scope:SCOPE_SE
	s_wait_storecnt 0x0
	s_wait_loadcnt_dscnt 0x0
	s_barrier_signal -1
	s_barrier_wait -1
	global_inv scope:SCOPE_SE
	v_mul_f64_e32 v[0:1], v[118:119], v[58:59]
	v_mul_f64_e32 v[2:3], v[116:117], v[58:59]
	;; [unrolled: 1-line block ×16, first 2 shown]
	v_fma_f64 v[116:117], v[116:117], v[56:57], -v[0:1]
	v_fma_f64 v[118:119], v[118:119], v[56:57], v[2:3]
	v_fma_f64 v[112:113], v[112:113], v[72:73], -v[4:5]
	v_fma_f64 v[114:115], v[114:115], v[72:73], v[6:7]
	v_fma_f64 v[12:13], v[104:105], v[64:65], -v[12:13]
	v_fma_f64 v[104:105], v[108:109], v[60:61], -v[14:15]
	;; [unrolled: 1-line block ×4, first 2 shown]
	v_fma_f64 v[16:17], v[102:103], v[88:89], v[20:21]
	v_fma_f64 v[20:21], v[98:99], v[84:85], v[22:23]
	;; [unrolled: 1-line block ×4, first 2 shown]
	v_fma_f64 v[2:3], v[92:93], v[80:81], -v[124:125]
	v_fma_f64 v[0:1], v[120:121], v[76:77], -v[126:127]
	v_fma_f64 v[6:7], v[94:95], v[80:81], v[128:129]
	v_fma_f64 v[4:5], v[122:123], v[76:77], v[130:131]
	v_add_f64_e32 v[108:109], v[68:69], v[116:117]
	v_add_f64_e32 v[24:25], v[116:117], v[112:113]
	v_add_f64_e32 v[26:27], v[118:119], v[114:115]
	v_add_f64_e64 v[110:111], v[118:119], -v[114:115]
	v_add_f64_e64 v[116:117], v[116:117], -v[112:113]
	v_add_f64_e32 v[120:121], v[52:53], v[12:13]
	v_add_f64_e32 v[92:93], v[12:13], v[104:105]
	;; [unrolled: 1-line block ×6, first 2 shown]
	v_add_f64_e64 v[130:131], v[16:17], -v[20:21]
	v_add_f64_e32 v[100:101], v[18:19], v[22:23]
	v_add_f64_e64 v[128:129], v[18:19], -v[22:23]
	v_add_f64_e32 v[102:103], v[2:3], v[0:1]
	;; [unrolled: 2-line block ×3, first 2 shown]
	v_add_f64_e64 v[138:139], v[12:13], -v[104:105]
	v_add_f64_e64 v[142:143], v[6:7], -v[4:5]
	;; [unrolled: 1-line block ×3, first 2 shown]
	v_add_f64_e32 v[118:119], v[70:71], v[118:119]
	v_add_f64_e32 v[122:123], v[54:55], v[18:19]
	;; [unrolled: 1-line block ×3, first 2 shown]
	v_fma_f64 v[24:25], v[24:25], -0.5, v[68:69]
	v_fma_f64 v[26:27], v[26:27], -0.5, v[70:71]
	v_add_f64_e32 v[16:17], v[120:121], v[104:105]
	v_fma_f64 v[132:133], v[92:93], -0.5, v[52:53]
	v_fma_f64 v[94:95], v[94:95], -0.5, v[44:45]
	v_add_f64_e32 v[44:45], v[124:125], v[96:97]
	v_fma_f64 v[136:137], v[98:99], -0.5, v[46:47]
	v_add_f64_e32 v[46:47], v[126:127], v[20:21]
	v_fma_f64 v[140:141], v[100:101], -0.5, v[54:55]
	v_mad_u16 v20, v28, 33, v30
	v_fma_f64 v[144:145], v[102:103], -0.5, v[48:49]
	v_mad_u16 v21, v29, 33, v32
	v_fma_f64 v[148:149], v[106:107], -0.5, v[50:51]
	s_delay_alu instid0(VALU_DEP_4)
	v_and_b32_e32 v20, 0xffff, v20
	v_add_f64_e32 v[14:15], v[118:119], v[114:115]
	v_add_f64_e32 v[18:19], v[122:123], v[22:23]
	v_and_b32_e32 v22, 0xffff, v31
	v_and_b32_e32 v21, 0xffff, v21
	v_lshlrev_b32_e32 v23, 4, v20
	s_delay_alu instid0(VALU_DEP_3) | instskip(NEXT) | instid1(VALU_DEP_3)
	v_mul_u32_u24_e32 v22, 33, v22
	v_lshlrev_b32_e32 v20, 4, v21
	s_delay_alu instid0(VALU_DEP_2)
	v_add_lshl_u32 v21, v22, v33, 4
	s_wait_alu 0xfffe
	v_fma_f64 v[68:69], v[110:111], s[14:15], v[24:25]
	v_fma_f64 v[70:71], v[116:117], s[12:13], v[26:27]
	v_fma_f64 v[52:53], v[110:111], s[12:13], v[24:25]
	v_fma_f64 v[54:55], v[116:117], s[14:15], v[26:27]
	v_fma_f64 v[104:105], v[128:129], s[14:15], v[132:133]
	v_fma_f64 v[92:93], v[128:129], s[12:13], v[132:133]
	v_fma_f64 v[96:97], v[130:131], s[12:13], v[94:95]
	v_fma_f64 v[100:101], v[130:131], s[14:15], v[94:95]
	v_fma_f64 v[98:99], v[134:135], s[14:15], v[136:137]
	v_fma_f64 v[102:103], v[134:135], s[12:13], v[136:137]
	v_fma_f64 v[94:95], v[138:139], s[14:15], v[140:141]
	v_fma_f64 v[106:107], v[138:139], s[12:13], v[140:141]
	v_fma_f64 v[124:125], v[142:143], s[12:13], v[144:145]
	v_fma_f64 v[136:137], v[142:143], s[14:15], v[144:145]
	v_fma_f64 v[126:127], v[146:147], s[14:15], v[148:149]
	v_fma_f64 v[138:139], v[146:147], s[12:13], v[148:149]
	ds_store_b128 v21, v[44:47]
	ds_store_b128 v21, v[96:99] offset:176
	scratch_store_b32 off, v21, off offset:252 ; 4-byte Folded Spill
	ds_store_b128 v21, v[100:103] offset:352
	ds_store_b128 v23, v[12:15]
	ds_store_b128 v23, v[52:55] offset:176
	scratch_store_b32 off, v23, off offset:248 ; 4-byte Folded Spill
	ds_store_b128 v23, v[68:71] offset:352
	;; [unrolled: 4-line block ×3, first 2 shown]
	s_and_saveexec_b32 s1, s0
	s_cbranch_execz .LBB0_5
; %bb.4:
	v_add_f64_e32 v[6:7], v[50:51], v[6:7]
	v_add_f64_e32 v[12:13], v[48:49], v[2:3]
	s_delay_alu instid0(VALU_DEP_2)
	v_add_f64_e32 v[2:3], v[6:7], v[4:5]
	s_clause 0x1
	scratch_load_b32 v4, off, off offset:236
	scratch_load_b32 v5, off, off offset:240
	v_add_f64_e32 v[0:1], v[12:13], v[0:1]
	s_wait_loadcnt 0x0
	v_mad_u16 v4, v4, 33, v5
	s_delay_alu instid0(VALU_DEP_1) | instskip(NEXT) | instid1(VALU_DEP_1)
	v_and_b32_e32 v4, 0xffff, v4
	v_lshlrev_b32_e32 v4, 4, v4
	ds_store_b128 v4, v[0:3]
	ds_store_b128 v4, v[124:127] offset:176
	ds_store_b128 v4, v[136:139] offset:352
.LBB0_5:
	s_wait_alu 0xfffe
	s_or_b32 exec_lo, exec_lo, s1
	global_wb scope:SCOPE_SE
	s_wait_storecnt_dscnt 0x0
	s_barrier_signal -1
	s_barrier_wait -1
	global_inv scope:SCOPE_SE
	ds_load_b128 v[132:135], v255
	ds_load_b128 v[128:131], v255 offset:2640
	ds_load_b128 v[108:111], v255 offset:5808
	;; [unrolled: 1-line block ×9, first 2 shown]
	v_add_co_u32 v188, s1, s8, v255
	s_wait_alu 0xf1ff
	v_add_co_ci_u32_e64 v189, null, s9, 0, s1
	v_cmp_gt_u16_e32 vcc_lo, 33, v43
                                        ; implicit-def: $vgpr68_vgpr69
                                        ; implicit-def: $vgpr140_vgpr141
                                        ; implicit-def: $vgpr144_vgpr145
	s_and_saveexec_b32 s1, vcc_lo
	s_cbranch_execz .LBB0_7
; %bb.6:
	ds_load_b128 v[124:127], v255 offset:5280
	ds_load_b128 v[136:139], v255 offset:11088
	;; [unrolled: 1-line block ×5, first 2 shown]
.LBB0_7:
	s_wait_alu 0xfffe
	s_or_b32 exec_lo, exec_lo, s1
	v_and_b32_e32 v0, 0xff, v43
	s_mov_b32 s16, 0x134454ff
	s_mov_b32 s17, 0x3fee6f0e
	;; [unrolled: 1-line block ×3, first 2 shown]
	s_wait_alu 0xfffe
	s_mov_b32 s18, s16
	v_mul_lo_u16 v0, 0xf9, v0
	s_mov_b32 s12, 0x4755a5e
	s_mov_b32 s13, 0x3fe2cf23
	;; [unrolled: 1-line block ×3, first 2 shown]
	s_wait_alu 0xfffe
	s_mov_b32 s14, s12
	v_lshrrev_b16 v1, 13, v0
	s_mov_b32 s20, 0x372fe950
	s_mov_b32 s21, 0x3fd3c6ef
	s_delay_alu instid0(VALU_DEP_1) | instskip(SKIP_1) | instid1(VALU_DEP_2)
	v_mul_lo_u16 v0, v1, 33
	v_and_b32_e32 v1, 0xffff, v1
	v_sub_nc_u16 v0, v43, v0
	s_delay_alu instid0(VALU_DEP_2) | instskip(NEXT) | instid1(VALU_DEP_2)
	v_mul_u32_u24_e32 v1, 0xa5, v1
	v_and_b32_e32 v0, 0xff, v0
	s_delay_alu instid0(VALU_DEP_1) | instskip(NEXT) | instid1(VALU_DEP_3)
	v_lshlrev_b32_e32 v4, 6, v0
	v_add_lshl_u32 v0, v1, v0, 4
	s_clause 0x1
	global_load_b128 v[92:95], v4, s[10:11] offset:368
	global_load_b128 v[96:99], v4, s[10:11] offset:352
	s_wait_loadcnt_dscnt 0x105
	v_mul_f64_e32 v[2:3], v[102:103], v[94:95]
	s_delay_alu instid0(VALU_DEP_1) | instskip(SKIP_1) | instid1(VALU_DEP_1)
	v_fma_f64 v[13:14], v[100:101], v[92:93], -v[2:3]
	v_mul_f64_e32 v[2:3], v[100:101], v[94:95]
	v_fma_f64 v[15:16], v[102:103], v[92:93], v[2:3]
	s_clause 0x1
	global_load_b128 v[100:103], v4, s[10:11] offset:384
	global_load_b128 v[104:107], v4, s[10:11] offset:400
	s_wait_loadcnt_dscnt 0x103
	v_mul_f64_e32 v[2:3], v[122:123], v[102:103]
	s_delay_alu instid0(VALU_DEP_1) | instskip(SKIP_1) | instid1(VALU_DEP_2)
	v_fma_f64 v[17:18], v[120:121], v[100:101], -v[2:3]
	v_mul_f64_e32 v[2:3], v[120:121], v[102:103]
	v_add_f64_e64 v[166:167], v[13:14], -v[17:18]
	s_delay_alu instid0(VALU_DEP_2) | instskip(SKIP_1) | instid1(VALU_DEP_1)
	v_fma_f64 v[19:20], v[122:123], v[100:101], v[2:3]
	v_mul_f64_e32 v[2:3], v[110:111], v[98:99]
	v_fma_f64 v[21:22], v[108:109], v[96:97], -v[2:3]
	v_mul_f64_e32 v[2:3], v[108:109], v[98:99]
	s_delay_alu instid0(VALU_DEP_1) | instskip(SKIP_2) | instid1(VALU_DEP_1)
	v_fma_f64 v[23:24], v[110:111], v[96:97], v[2:3]
	s_wait_loadcnt_dscnt 0x1
	v_mul_f64_e32 v[2:3], v[114:115], v[106:107]
	v_fma_f64 v[25:26], v[112:113], v[104:105], -v[2:3]
	v_mul_f64_e32 v[2:3], v[112:113], v[106:107]
	s_delay_alu instid0(VALU_DEP_2) | instskip(NEXT) | instid1(VALU_DEP_2)
	v_add_f64_e64 v[164:165], v[21:22], -v[25:26]
	v_fma_f64 v[148:149], v[114:115], v[104:105], v[2:3]
	v_mul_u32_u24_e32 v2, 0xf83f, v11
	s_delay_alu instid0(VALU_DEP_1) | instskip(NEXT) | instid1(VALU_DEP_1)
	v_lshrrev_b32_e32 v2, 21, v2
	v_mul_lo_u16 v3, v2, 33
	s_delay_alu instid0(VALU_DEP_1) | instskip(NEXT) | instid1(VALU_DEP_1)
	v_sub_nc_u16 v3, v8, v3
	v_lshlrev_b16 v4, 6, v3
	s_delay_alu instid0(VALU_DEP_1) | instskip(NEXT) | instid1(VALU_DEP_1)
	v_and_b32_e32 v4, 0xffff, v4
	v_add_co_u32 v4, s1, s10, v4
	s_wait_alu 0xf1ff
	v_add_co_ci_u32_e64 v5, null, s11, 0, s1
	s_clause 0x1
	global_load_b128 v[108:111], v[4:5], off offset:368
	global_load_b128 v[112:115], v[4:5], off offset:352
	s_wait_loadcnt 0x1
	v_mul_f64_e32 v[6:7], v[118:119], v[110:111]
	s_delay_alu instid0(VALU_DEP_1) | instskip(SKIP_1) | instid1(VALU_DEP_1)
	v_fma_f64 v[150:151], v[116:117], v[108:109], -v[6:7]
	v_mul_f64_e32 v[6:7], v[116:117], v[110:111]
	v_fma_f64 v[176:177], v[118:119], v[108:109], v[6:7]
	s_clause 0x1
	global_load_b128 v[116:119], v[4:5], off offset:384
	global_load_b128 v[120:123], v[4:5], off offset:400
	s_wait_loadcnt 0x1
	v_mul_f64_e32 v[4:5], v[54:55], v[118:119]
	s_delay_alu instid0(VALU_DEP_1) | instskip(SKIP_1) | instid1(VALU_DEP_1)
	v_fma_f64 v[178:179], v[52:53], v[116:117], -v[4:5]
	v_mul_f64_e32 v[4:5], v[52:53], v[118:119]
	v_fma_f64 v[180:181], v[54:55], v[116:117], v[4:5]
	v_mul_f64_e32 v[4:5], v[46:47], v[114:115]
	s_delay_alu instid0(VALU_DEP_1) | instskip(SKIP_1) | instid1(VALU_DEP_1)
	v_fma_f64 v[182:183], v[44:45], v[112:113], -v[4:5]
	v_mul_f64_e32 v[4:5], v[44:45], v[114:115]
	v_fma_f64 v[184:185], v[46:47], v[112:113], v[4:5]
	s_wait_loadcnt_dscnt 0x0
	v_mul_f64_e32 v[4:5], v[50:51], v[122:123]
	s_delay_alu instid0(VALU_DEP_1) | instskip(SKIP_1) | instid1(VALU_DEP_1)
	v_fma_f64 v[186:187], v[48:49], v[120:121], -v[4:5]
	v_mul_f64_e32 v[4:5], v[48:49], v[122:123]
	v_fma_f64 v[190:191], v[50:51], v[120:121], v[4:5]
	v_mul_u32_u24_e32 v4, 0xf83f, v10
	s_delay_alu instid0(VALU_DEP_1) | instskip(NEXT) | instid1(VALU_DEP_1)
	v_lshrrev_b32_e32 v4, 21, v4
	v_mul_lo_u16 v4, v4, 33
	s_delay_alu instid0(VALU_DEP_1) | instskip(NEXT) | instid1(VALU_DEP_1)
	v_sub_nc_u16 v4, v9, v4
	v_lshlrev_b16 v5, 6, v4
	s_delay_alu instid0(VALU_DEP_1) | instskip(NEXT) | instid1(VALU_DEP_1)
	v_and_b32_e32 v5, 0xffff, v5
	v_add_co_u32 v5, s1, s10, v5
	s_wait_alu 0xf1ff
	v_add_co_ci_u32_e64 v6, null, s11, 0, s1
	s_clause 0x1
	global_load_b128 v[44:47], v[5:6], off offset:368
	global_load_b128 v[48:51], v[5:6], off offset:352
	s_wait_loadcnt 0x1
	v_mul_f64_e32 v[7:8], v[70:71], v[46:47]
	s_delay_alu instid0(VALU_DEP_1) | instskip(SKIP_1) | instid1(VALU_DEP_1)
	v_fma_f64 v[152:153], v[68:69], v[44:45], -v[7:8]
	v_mul_f64_e32 v[7:8], v[68:69], v[46:47]
	v_fma_f64 v[154:155], v[70:71], v[44:45], v[7:8]
	s_clause 0x1
	global_load_b128 v[52:55], v[5:6], off offset:384
	global_load_b128 v[68:71], v[5:6], off offset:400
	v_add_f64_e64 v[7:8], v[25:26], -v[17:18]
	s_wait_loadcnt 0x1
	v_mul_f64_e32 v[5:6], v[142:143], v[54:55]
	s_delay_alu instid0(VALU_DEP_1) | instskip(SKIP_1) | instid1(VALU_DEP_1)
	v_fma_f64 v[156:157], v[140:141], v[52:53], -v[5:6]
	v_mul_f64_e32 v[5:6], v[140:141], v[54:55]
	v_fma_f64 v[158:159], v[142:143], v[52:53], v[5:6]
	v_mul_f64_e32 v[5:6], v[138:139], v[50:51]
	s_delay_alu instid0(VALU_DEP_1) | instskip(SKIP_1) | instid1(VALU_DEP_1)
	v_fma_f64 v[160:161], v[136:137], v[48:49], -v[5:6]
	v_mul_f64_e32 v[5:6], v[136:137], v[50:51]
	v_fma_f64 v[162:163], v[138:139], v[48:49], v[5:6]
	s_wait_loadcnt 0x0
	v_mul_f64_e32 v[5:6], v[146:147], v[70:71]
	s_delay_alu instid0(VALU_DEP_1) | instskip(SKIP_2) | instid1(VALU_DEP_2)
	v_fma_f64 v[136:137], v[144:145], v[68:69], -v[5:6]
	v_mul_f64_e32 v[5:6], v[144:145], v[70:71]
	v_add_f64_e64 v[144:145], v[23:24], -v[148:149]
	v_fma_f64 v[138:139], v[146:147], v[68:69], v[5:6]
	v_add_f64_e64 v[5:6], v[21:22], -v[13:14]
	v_add_f64_e64 v[146:147], v[15:16], -v[19:20]
	s_delay_alu instid0(VALU_DEP_2) | instskip(SKIP_2) | instid1(VALU_DEP_1)
	v_add_f64_e32 v[9:10], v[5:6], v[7:8]
	v_add_f64_e64 v[5:6], v[23:24], -v[15:16]
	v_add_f64_e64 v[7:8], v[148:149], -v[19:20]
	v_add_f64_e32 v[11:12], v[5:6], v[7:8]
	v_add_f64_e32 v[5:6], v[13:14], v[17:18]
	s_delay_alu instid0(VALU_DEP_1) | instskip(SKIP_1) | instid1(VALU_DEP_1)
	v_fma_f64 v[140:141], v[5:6], -0.5, v[132:133]
	v_add_f64_e32 v[5:6], v[15:16], v[19:20]
	v_fma_f64 v[142:143], v[5:6], -0.5, v[134:135]
	s_delay_alu instid0(VALU_DEP_3) | instskip(SKIP_1) | instid1(VALU_DEP_3)
	v_fma_f64 v[5:6], v[144:145], s[16:17], v[140:141]
	v_fma_f64 v[140:141], v[144:145], s[18:19], v[140:141]
	;; [unrolled: 1-line block ×3, first 2 shown]
	s_delay_alu instid0(VALU_DEP_3) | instskip(SKIP_2) | instid1(VALU_DEP_4)
	v_fma_f64 v[5:6], v[146:147], s[12:13], v[5:6]
	v_fma_f64 v[142:143], v[164:165], s[16:17], v[142:143]
	s_wait_alu 0xfffe
	v_fma_f64 v[140:141], v[146:147], s[14:15], v[140:141]
	s_delay_alu instid0(VALU_DEP_4) | instskip(NEXT) | instid1(VALU_DEP_4)
	v_fma_f64 v[7:8], v[166:167], s[14:15], v[7:8]
	v_fma_f64 v[5:6], v[9:10], s[20:21], v[5:6]
	s_delay_alu instid0(VALU_DEP_4) | instskip(NEXT) | instid1(VALU_DEP_4)
	v_fma_f64 v[142:143], v[166:167], s[12:13], v[142:143]
	v_fma_f64 v[9:10], v[9:10], s[20:21], v[140:141]
	v_add_f64_e32 v[140:141], v[21:22], v[25:26]
	v_fma_f64 v[7:8], v[11:12], s[20:21], v[7:8]
	s_delay_alu instid0(VALU_DEP_4) | instskip(SKIP_1) | instid1(VALU_DEP_4)
	v_fma_f64 v[11:12], v[11:12], s[20:21], v[142:143]
	v_add_f64_e32 v[142:143], v[23:24], v[148:149]
	v_fma_f64 v[140:141], v[140:141], -0.5, v[132:133]
	v_add_f64_e32 v[132:133], v[132:133], v[21:22]
	v_add_f64_e64 v[21:22], v[13:14], -v[21:22]
	s_delay_alu instid0(VALU_DEP_4) | instskip(SKIP_1) | instid1(VALU_DEP_4)
	v_fma_f64 v[142:143], v[142:143], -0.5, v[134:135]
	v_add_f64_e32 v[134:135], v[134:135], v[23:24]
	v_add_f64_e32 v[13:14], v[132:133], v[13:14]
	v_add_f64_e64 v[23:24], v[15:16], -v[23:24]
	s_delay_alu instid0(VALU_DEP_3) | instskip(NEXT) | instid1(VALU_DEP_3)
	v_add_f64_e32 v[132:133], v[134:135], v[15:16]
	v_add_f64_e32 v[13:14], v[13:14], v[17:18]
	v_add_f64_e64 v[17:18], v[17:18], -v[25:26]
	v_fma_f64 v[134:135], v[166:167], s[16:17], v[142:143]
	s_delay_alu instid0(VALU_DEP_4) | instskip(NEXT) | instid1(VALU_DEP_4)
	v_add_f64_e32 v[15:16], v[132:133], v[19:20]
	v_add_f64_e32 v[13:14], v[13:14], v[25:26]
	v_add_f64_e64 v[19:20], v[19:20], -v[148:149]
	v_fma_f64 v[25:26], v[146:147], s[18:19], v[140:141]
	v_fma_f64 v[132:133], v[146:147], s[16:17], v[140:141]
	;; [unrolled: 1-line block ×3, first 2 shown]
	v_add_f64_e32 v[17:18], v[21:22], v[17:18]
	v_add_f64_e64 v[146:147], v[150:151], -v[178:179]
	v_add_f64_e32 v[15:16], v[15:16], v[148:149]
	v_add_f64_e32 v[19:20], v[23:24], v[19:20]
	v_fma_f64 v[21:22], v[144:145], s[12:13], v[25:26]
	v_fma_f64 v[23:24], v[144:145], s[14:15], v[132:133]
	;; [unrolled: 1-line block ×4, first 2 shown]
	v_add_f64_e64 v[144:145], v[182:183], -v[186:187]
	v_fma_f64 v[132:133], v[17:18], s[20:21], v[21:22]
	v_fma_f64 v[164:165], v[17:18], s[20:21], v[23:24]
	;; [unrolled: 1-line block ×4, first 2 shown]
	v_add_f64_e64 v[17:18], v[182:183], -v[150:151]
	v_add_f64_e64 v[19:20], v[186:187], -v[178:179]
	;; [unrolled: 1-line block ×3, first 2 shown]
	v_add_f64_e32 v[23:24], v[176:177], v[180:181]
	v_add_f64_e64 v[25:26], v[184:185], -v[190:191]
	v_add_f64_e64 v[140:141], v[176:177], -v[180:181]
	v_add_f64_e32 v[17:18], v[17:18], v[19:20]
	v_add_f64_e64 v[19:20], v[184:185], -v[176:177]
	v_fma_f64 v[23:24], v[23:24], -0.5, v[130:131]
	s_delay_alu instid0(VALU_DEP_2) | instskip(SKIP_1) | instid1(VALU_DEP_3)
	v_add_f64_e32 v[19:20], v[19:20], v[21:22]
	v_add_f64_e32 v[21:22], v[150:151], v[178:179]
	v_fma_f64 v[148:149], v[144:145], s[18:19], v[23:24]
	v_fma_f64 v[23:24], v[144:145], s[16:17], v[23:24]
	s_delay_alu instid0(VALU_DEP_3) | instskip(NEXT) | instid1(VALU_DEP_3)
	v_fma_f64 v[21:22], v[21:22], -0.5, v[128:129]
	v_fma_f64 v[148:149], v[146:147], s[14:15], v[148:149]
	s_delay_alu instid0(VALU_DEP_3) | instskip(NEXT) | instid1(VALU_DEP_3)
	v_fma_f64 v[23:24], v[146:147], s[12:13], v[23:24]
	v_fma_f64 v[142:143], v[25:26], s[16:17], v[21:22]
	;; [unrolled: 1-line block ×3, first 2 shown]
	s_delay_alu instid0(VALU_DEP_3)
	v_fma_f64 v[174:175], v[19:20], s[20:21], v[23:24]
	v_add_f64_e32 v[23:24], v[130:131], v[184:185]
	v_fma_f64 v[170:171], v[19:20], s[20:21], v[148:149]
	v_add_f64_e32 v[19:20], v[184:185], v[190:191]
	v_add_f64_e64 v[148:149], v[176:177], -v[184:185]
	v_fma_f64 v[142:143], v[140:141], s[12:13], v[142:143]
	v_fma_f64 v[21:22], v[140:141], s[14:15], v[21:22]
	v_add_f64_e32 v[23:24], v[23:24], v[176:177]
	v_fma_f64 v[19:20], v[19:20], -0.5, v[130:131]
	s_delay_alu instid0(VALU_DEP_4) | instskip(NEXT) | instid1(VALU_DEP_4)
	v_fma_f64 v[168:169], v[17:18], s[20:21], v[142:143]
	v_fma_f64 v[172:173], v[17:18], s[20:21], v[21:22]
	v_add_f64_e32 v[21:22], v[128:129], v[182:183]
	v_add_f64_e32 v[17:18], v[182:183], v[186:187]
	;; [unrolled: 1-line block ×3, first 2 shown]
	v_add_f64_e64 v[142:143], v[150:151], -v[182:183]
	s_delay_alu instid0(VALU_DEP_4) | instskip(NEXT) | instid1(VALU_DEP_4)
	v_add_f64_e32 v[21:22], v[21:22], v[150:151]
	v_fma_f64 v[17:18], v[17:18], -0.5, v[128:129]
	v_add_f64_e64 v[150:151], v[178:179], -v[186:187]
	v_add_f64_e32 v[130:131], v[23:24], v[190:191]
	s_delay_alu instid0(VALU_DEP_4) | instskip(NEXT) | instid1(VALU_DEP_4)
	v_add_f64_e32 v[21:22], v[21:22], v[178:179]
	v_fma_f64 v[23:24], v[140:141], s[18:19], v[17:18]
	v_fma_f64 v[17:18], v[140:141], s[16:17], v[17:18]
	;; [unrolled: 1-line block ×4, first 2 shown]
	v_add_f64_e32 v[142:143], v[142:143], v[150:151]
	v_add_f64_e64 v[146:147], v[160:161], -v[136:137]
	v_add_f64_e64 v[150:151], v[158:159], -v[138:139]
	v_add_f64_e32 v[128:129], v[21:22], v[186:187]
	v_add_f64_e64 v[21:22], v[180:181], -v[190:191]
	v_fma_f64 v[17:18], v[25:26], s[14:15], v[17:18]
	v_fma_f64 v[23:24], v[25:26], s[12:13], v[23:24]
	;; [unrolled: 1-line block ×4, first 2 shown]
	v_add_f64_e64 v[144:145], v[154:155], -v[158:159]
	v_add_f64_e32 v[21:22], v[148:149], v[21:22]
	v_fma_f64 v[184:185], v[142:143], s[20:21], v[17:18]
	v_add_f64_e64 v[17:18], v[160:161], -v[152:153]
	v_fma_f64 v[180:181], v[142:143], s[20:21], v[23:24]
	v_add_f64_e32 v[23:24], v[154:155], v[158:159]
	v_add_f64_e64 v[148:149], v[152:153], -v[156:157]
	v_fma_f64 v[186:187], v[21:22], s[20:21], v[19:20]
	v_add_f64_e64 v[19:20], v[136:137], -v[156:157]
	v_fma_f64 v[182:183], v[21:22], s[20:21], v[25:26]
	v_add_f64_e64 v[21:22], v[138:139], -v[158:159]
	v_fma_f64 v[23:24], v[23:24], -0.5, v[126:127]
	v_add_f64_e64 v[25:26], v[162:163], -v[138:139]
	v_add_f64_e32 v[17:18], v[17:18], v[19:20]
	v_add_f64_e64 v[19:20], v[162:163], -v[154:155]
	s_delay_alu instid0(VALU_DEP_4) | instskip(SKIP_1) | instid1(VALU_DEP_3)
	v_fma_f64 v[142:143], v[146:147], s[18:19], v[23:24]
	v_fma_f64 v[23:24], v[146:147], s[16:17], v[23:24]
	v_add_f64_e32 v[19:20], v[19:20], v[21:22]
	v_add_f64_e32 v[21:22], v[152:153], v[156:157]
	s_delay_alu instid0(VALU_DEP_4) | instskip(NEXT) | instid1(VALU_DEP_4)
	v_fma_f64 v[142:143], v[148:149], s[14:15], v[142:143]
	v_fma_f64 v[23:24], v[148:149], s[12:13], v[23:24]
	s_delay_alu instid0(VALU_DEP_3) | instskip(NEXT) | instid1(VALU_DEP_3)
	v_fma_f64 v[21:22], v[21:22], -0.5, v[124:125]
	v_fma_f64 v[178:179], v[19:20], s[20:21], v[142:143]
	s_delay_alu instid0(VALU_DEP_3) | instskip(SKIP_1) | instid1(VALU_DEP_4)
	v_fma_f64 v[19:20], v[19:20], s[20:21], v[23:24]
	v_add_f64_e32 v[23:24], v[162:163], v[138:139]
	v_fma_f64 v[140:141], v[25:26], s[16:17], v[21:22]
	v_fma_f64 v[21:22], v[25:26], s[18:19], v[21:22]
	s_delay_alu instid0(VALU_DEP_3) | instskip(NEXT) | instid1(VALU_DEP_3)
	v_fma_f64 v[23:24], v[23:24], -0.5, v[126:127]
	v_fma_f64 v[140:141], v[144:145], s[12:13], v[140:141]
	s_delay_alu instid0(VALU_DEP_3) | instskip(NEXT) | instid1(VALU_DEP_2)
	v_fma_f64 v[21:22], v[144:145], s[14:15], v[21:22]
	v_fma_f64 v[176:177], v[17:18], s[20:21], v[140:141]
	s_delay_alu instid0(VALU_DEP_2) | instskip(SKIP_3) | instid1(VALU_DEP_1)
	v_fma_f64 v[17:18], v[17:18], s[20:21], v[21:22]
	scratch_store_b128 off, v[17:20], off   ; 16-byte Folded Spill
	v_add_f64_e64 v[17:18], v[152:153], -v[160:161]
	v_add_f64_e64 v[19:20], v[156:157], -v[136:137]
	v_add_f64_e32 v[17:18], v[17:18], v[19:20]
	v_add_f64_e32 v[19:20], v[160:161], v[136:137]
	s_delay_alu instid0(VALU_DEP_1) | instskip(NEXT) | instid1(VALU_DEP_1)
	v_fma_f64 v[19:20], v[19:20], -0.5, v[124:125]
	v_fma_f64 v[21:22], v[144:145], s[18:19], v[19:20]
	v_fma_f64 v[19:20], v[144:145], s[16:17], v[19:20]
	;; [unrolled: 1-line block ×4, first 2 shown]
	v_add_f64_e64 v[148:149], v[154:155], -v[162:163]
	v_fma_f64 v[21:22], v[25:26], s[12:13], v[21:22]
	v_fma_f64 v[19:20], v[25:26], s[14:15], v[19:20]
	;; [unrolled: 1-line block ×4, first 2 shown]
	v_add_f64_e32 v[150:151], v[148:149], v[150:151]
	v_fma_f64 v[27:28], v[17:18], s[20:21], v[21:22]
	v_fma_f64 v[17:18], v[17:18], s[20:21], v[19:20]
	s_delay_alu instid0(VALU_DEP_3)
	v_fma_f64 v[29:30], v[150:151], s[20:21], v[25:26]
	v_fma_f64 v[19:20], v[150:151], s[20:21], v[23:24]
	s_clause 0x1
	scratch_store_b128 off, v[27:30], off offset:16
	scratch_store_b128 off, v[17:20], off offset:32
	global_wb scope:SCOPE_SE
	s_wait_storecnt 0x0
	s_barrier_signal -1
	s_barrier_wait -1
	global_inv scope:SCOPE_SE
	ds_store_b128 v0, v[13:16]
	ds_store_b128 v0, v[5:8] offset:528
	ds_store_b128 v0, v[132:135] offset:1056
	;; [unrolled: 1-line block ×3, first 2 shown]
	scratch_store_b32 off, v0, off offset:264 ; 4-byte Folded Spill
	ds_store_b128 v0, v[9:12] offset:2112
	v_mad_u16 v0, 0xa5, v2, v3
	s_delay_alu instid0(VALU_DEP_1) | instskip(NEXT) | instid1(VALU_DEP_1)
	v_and_b32_e32 v0, 0xffff, v0
	v_lshlrev_b32_e32 v0, 4, v0
	ds_store_b128 v0, v[128:131]
	ds_store_b128 v0, v[168:171] offset:528
	ds_store_b128 v0, v[180:183] offset:1056
	;; [unrolled: 1-line block ×3, first 2 shown]
	scratch_store_b32 off, v0, off offset:260 ; 4-byte Folded Spill
	ds_store_b128 v0, v[172:175] offset:2112
	v_and_b32_e32 v0, 0xffff, v4
	scratch_store_b32 off, v0, off offset:256 ; 4-byte Folded Spill
	s_and_saveexec_b32 s1, vcc_lo
	s_cbranch_execz .LBB0_9
; %bb.8:
	v_add_f64_e32 v[0:1], v[126:127], v[162:163]
	v_add_f64_e32 v[2:3], v[124:125], v[160:161]
	s_delay_alu instid0(VALU_DEP_2) | instskip(NEXT) | instid1(VALU_DEP_2)
	v_add_f64_e32 v[0:1], v[0:1], v[154:155]
	v_add_f64_e32 v[2:3], v[2:3], v[152:153]
	s_delay_alu instid0(VALU_DEP_2) | instskip(NEXT) | instid1(VALU_DEP_2)
	;; [unrolled: 3-line block ×3, first 2 shown]
	v_add_f64_e32 v[2:3], v[0:1], v[138:139]
	v_add_f64_e32 v[0:1], v[4:5], v[136:137]
	s_clause 0x1
	scratch_load_b32 v4, off, off offset:256
	scratch_load_b128 v[5:8], off, off offset:16
	s_wait_loadcnt 0x1
	v_lshlrev_b32_e32 v4, 4, v4
	s_wait_loadcnt 0x0
	ds_store_b128 v4, v[5:8] offset:27456
	scratch_load_b128 v[5:8], off, off offset:32 ; 16-byte Folded Reload
	s_wait_loadcnt 0x0
	ds_store_b128 v4, v[5:8] offset:27984
	ds_store_b128 v4, v[0:3] offset:26400
	;; [unrolled: 1-line block ×3, first 2 shown]
	scratch_load_b128 v[0:3], off, off      ; 16-byte Folded Reload
	s_wait_loadcnt 0x0
	ds_store_b128 v4, v[0:3] offset:28512
.LBB0_9:
	s_wait_alu 0xfffe
	s_or_b32 exec_lo, exec_lo, s1
	v_mad_co_u64_u32 v[0:1], null, 0xa0, v43, s[10:11]
	scratch_store_b32 off, v43, off offset:144 ; 4-byte Folded Spill
	global_wb scope:SCOPE_SE
	s_wait_storecnt_dscnt 0x0
	s_barrier_signal -1
	s_barrier_wait -1
	global_inv scope:SCOPE_SE
	s_mov_b32 s28, 0xf8bb580b
	s_clause 0x3
	global_load_b128 v[136:139], v[0:1], off offset:2464
	global_load_b128 v[132:135], v[0:1], off offset:2480
	;; [unrolled: 1-line block ×4, first 2 shown]
	ds_load_b128 v[2:5], v255 offset:2640
	ds_load_b128 v[180:183], v255
	ds_load_b128 v[6:9], v255 offset:5280
	ds_load_b128 v[10:13], v255 offset:7920
	s_mov_b32 s16, 0x8eee2c13
	s_mov_b32 s18, 0x43842ef
	;; [unrolled: 1-line block ×20, first 2 shown]
	s_wait_alu 0xfffe
	s_mov_b32 s38, s10
	s_mov_b32 s31, 0x3fefac9e
	;; [unrolled: 1-line block ×7, first 2 shown]
	s_add_nc_u64 s[8:9], s[8:9], 0x7170
	s_wait_loadcnt_dscnt 0x303
	v_mul_f64_e32 v[14:15], v[4:5], v[138:139]
	v_mul_f64_e32 v[18:19], v[2:3], v[138:139]
	s_delay_alu instid0(VALU_DEP_2) | instskip(NEXT) | instid1(VALU_DEP_2)
	v_fma_f64 v[14:15], v[2:3], v[136:137], -v[14:15]
	v_fma_f64 v[18:19], v[4:5], v[136:137], v[18:19]
	s_wait_loadcnt_dscnt 0x201
	v_mul_f64_e32 v[2:3], v[8:9], v[134:135]
	v_mul_f64_e32 v[4:5], v[6:7], v[134:135]
	s_delay_alu instid0(VALU_DEP_2) | instskip(NEXT) | instid1(VALU_DEP_2)
	v_fma_f64 v[190:191], v[6:7], v[132:133], -v[2:3]
	v_fma_f64 v[192:193], v[8:9], v[132:133], v[4:5]
	;; [unrolled: 6-line block ×3, first 2 shown]
	ds_load_b128 v[2:5], v255 offset:10560
	ds_load_b128 v[6:9], v255 offset:13200
	s_clause 0x1
	global_load_b128 v[156:159], v[0:1], off offset:2528
	global_load_b128 v[152:155], v[0:1], off offset:2544
	s_wait_loadcnt_dscnt 0x201
	v_mul_f64_e32 v[10:11], v[4:5], v[130:131]
	s_delay_alu instid0(VALU_DEP_1) | instskip(SKIP_1) | instid1(VALU_DEP_1)
	v_fma_f64 v[198:199], v[2:3], v[128:129], -v[10:11]
	v_mul_f64_e32 v[2:3], v[2:3], v[130:131]
	v_fma_f64 v[200:201], v[4:5], v[128:129], v[2:3]
	s_wait_loadcnt_dscnt 0x100
	v_mul_f64_e32 v[2:3], v[8:9], v[158:159]
	s_delay_alu instid0(VALU_DEP_1) | instskip(SKIP_1) | instid1(VALU_DEP_1)
	v_fma_f64 v[202:203], v[6:7], v[156:157], -v[2:3]
	v_mul_f64_e32 v[2:3], v[6:7], v[158:159]
	v_fma_f64 v[204:205], v[8:9], v[156:157], v[2:3]
	ds_load_b128 v[2:5], v255 offset:15840
	ds_load_b128 v[6:9], v255 offset:18480
	s_clause 0x1
	global_load_b128 v[160:163], v[0:1], off offset:2560
	global_load_b128 v[164:167], v[0:1], off offset:2576
	s_wait_loadcnt_dscnt 0x201
	v_mul_f64_e32 v[10:11], v[4:5], v[154:155]
	s_delay_alu instid0(VALU_DEP_1) | instskip(SKIP_1) | instid1(VALU_DEP_2)
	v_fma_f64 v[206:207], v[2:3], v[152:153], -v[10:11]
	v_mul_f64_e32 v[2:3], v[2:3], v[154:155]
	v_add_f64_e32 v[146:147], v[202:203], v[206:207]
	s_delay_alu instid0(VALU_DEP_2) | instskip(NEXT) | instid1(VALU_DEP_1)
	v_fma_f64 v[208:209], v[4:5], v[152:153], v[2:3]
	v_add_f64_e64 v[144:145], v[204:205], -v[208:209]
	v_add_f64_e32 v[148:149], v[204:205], v[208:209]
	s_wait_loadcnt_dscnt 0x100
	v_mul_f64_e32 v[2:3], v[8:9], v[162:163]
	s_delay_alu instid0(VALU_DEP_1) | instskip(SKIP_1) | instid1(VALU_DEP_2)
	v_fma_f64 v[210:211], v[6:7], v[160:161], -v[2:3]
	v_mul_f64_e32 v[2:3], v[6:7], v[162:163]
	v_add_f64_e64 v[140:141], v[198:199], -v[210:211]
	s_delay_alu instid0(VALU_DEP_2)
	v_fma_f64 v[212:213], v[8:9], v[160:161], v[2:3]
	ds_load_b128 v[2:5], v255 offset:21120
	ds_load_b128 v[6:9], v255 offset:23760
	s_clause 0x1
	global_load_b128 v[168:171], v[0:1], off offset:2592
	global_load_b128 v[172:175], v[0:1], off offset:2608
	s_wait_loadcnt_dscnt 0x201
	v_mul_f64_e32 v[10:11], v[4:5], v[166:167]
	v_mul_f64_e32 v[142:143], s[12:13], v[140:141]
	v_add_f64_e64 v[16:17], v[200:201], -v[212:213]
	s_delay_alu instid0(VALU_DEP_3) | instskip(SKIP_1) | instid1(VALU_DEP_2)
	v_fma_f64 v[214:215], v[2:3], v[164:165], -v[10:11]
	v_mul_f64_e32 v[2:3], v[2:3], v[166:167]
	v_add_f64_e64 v[40:41], v[194:195], -v[214:215]
	s_delay_alu instid0(VALU_DEP_2) | instskip(NEXT) | instid1(VALU_DEP_2)
	v_fma_f64 v[216:217], v[4:5], v[164:165], v[2:3]
	v_mul_f64_e32 v[42:43], s[18:19], v[40:41]
	s_wait_loadcnt_dscnt 0x100
	v_mul_f64_e32 v[0:1], v[8:9], v[170:171]
	s_delay_alu instid0(VALU_DEP_1) | instskip(SKIP_1) | instid1(VALU_DEP_1)
	v_fma_f64 v[218:219], v[6:7], v[168:169], -v[0:1]
	v_mul_f64_e32 v[0:1], v[6:7], v[170:171]
	v_fma_f64 v[220:221], v[8:9], v[168:169], v[0:1]
	ds_load_b128 v[0:3], v255 offset:26400
	s_wait_loadcnt_dscnt 0x0
	v_mul_f64_e32 v[4:5], v[0:1], v[174:175]
	s_delay_alu instid0(VALU_DEP_1) | instskip(SKIP_1) | instid1(VALU_DEP_2)
	v_fma_f64 v[222:223], v[2:3], v[172:173], v[4:5]
	v_mul_f64_e32 v[2:3], v[2:3], v[174:175]
	v_add_f64_e32 v[231:232], v[18:19], v[222:223]
	s_delay_alu instid0(VALU_DEP_2) | instskip(SKIP_1) | instid1(VALU_DEP_2)
	v_fma_f64 v[225:226], v[0:1], v[172:173], -v[2:3]
	v_add_f64_e64 v[0:1], v[18:19], -v[222:223]
	v_add_f64_e32 v[10:11], v[14:15], v[225:226]
	s_delay_alu instid0(VALU_DEP_2)
	v_mul_f64_e32 v[2:3], s[28:29], v[0:1]
	v_mul_f64_e32 v[4:5], s[16:17], v[0:1]
	;; [unrolled: 1-line block ×5, first 2 shown]
	v_fma_f64 v[12:13], v[10:11], s[26:27], -v[2:3]
	v_fma_f64 v[2:3], v[10:11], s[26:27], v[2:3]
	v_fma_f64 v[20:21], v[10:11], s[22:23], -v[4:5]
	v_fma_f64 v[4:5], v[10:11], s[22:23], v[4:5]
	;; [unrolled: 2-line block ×3, first 2 shown]
	v_add_f64_e64 v[0:1], v[14:15], -v[225:226]
	v_fma_f64 v[22:23], v[10:11], s[24:25], -v[6:7]
	v_fma_f64 v[6:7], v[10:11], s[24:25], v[6:7]
	v_fma_f64 v[24:25], v[10:11], s[20:21], -v[8:9]
	v_fma_f64 v[26:27], v[10:11], s[20:21], v[8:9]
	v_add_f64_e32 v[30:31], v[180:181], v[2:3]
	v_add_f64_e32 v[20:21], v[180:181], v[20:21]
	;; [unrolled: 1-line block ×4, first 2 shown]
	v_mul_f64_e32 v[184:185], s[12:13], v[16:17]
	v_mul_f64_e32 v[8:9], s[28:29], v[0:1]
	;; [unrolled: 1-line block ×6, first 2 shown]
	v_add_f64_e32 v[249:250], v[180:181], v[26:27]
	v_add_f64_e64 v[26:27], v[196:197], -v[216:217]
	v_add_f64_e32 v[2:3], v[180:181], v[24:25]
	v_fma_f64 v[233:234], v[231:232], s[26:27], v[8:9]
	v_fma_f64 v[235:236], v[231:232], s[22:23], v[10:11]
	;; [unrolled: 1-line block ×3, first 2 shown]
	v_fma_f64 v[243:244], v[231:232], s[20:21], -v[229:230]
	v_fma_f64 v[251:252], v[231:232], s[14:15], v[0:1]
	v_fma_f64 v[253:254], v[231:232], s[14:15], -v[0:1]
	v_add_f64_e32 v[0:1], v[180:181], v[14:15]
	v_add_f64_e32 v[14:15], v[180:181], v[22:23]
	v_fma_f64 v[241:242], v[231:232], s[20:21], v[229:230]
	v_add_f64_e32 v[229:230], v[182:183], v[18:19]
	v_add_f64_e32 v[18:19], v[180:181], v[12:13]
	v_fma_f64 v[8:9], v[231:232], s[26:27], -v[8:9]
	v_fma_f64 v[10:11], v[231:232], s[22:23], -v[10:11]
	v_fma_f64 v[239:240], v[231:232], s[24:25], -v[227:228]
	v_mul_f64_e32 v[24:25], s[18:19], v[26:27]
	v_add_f64_e32 v[231:232], v[180:181], v[186:187]
	v_mul_f64_e32 v[186:187], s[10:11], v[144:145]
	v_add_f64_e32 v[28:29], v[182:183], v[233:234]
	v_add_f64_e32 v[34:35], v[182:183], v[235:236]
	;; [unrolled: 1-line block ×5, first 2 shown]
	v_add_f64_e64 v[251:252], v[192:193], -v[220:221]
	v_add_f64_e32 v[233:234], v[182:183], v[253:254]
	v_add_f64_e64 v[253:254], v[190:191], -v[218:219]
	v_add_f64_e32 v[12:13], v[182:183], v[237:238]
	v_add_f64_e32 v[237:238], v[192:193], v[220:221]
	scratch_store_b64 off, v[0:1], off offset:268 ; 8-byte Folded Spill
	v_add_f64_e32 v[32:33], v[182:183], v[8:9]
	v_add_f64_e32 v[38:39], v[182:183], v[10:11]
	;; [unrolled: 1-line block ×7, first 2 shown]
	v_mul_f64_e32 v[22:23], s[16:17], v[251:252]
	s_delay_alu instid0(VALU_DEP_1) | instskip(SKIP_1) | instid1(VALU_DEP_2)
	v_fma_f64 v[4:5], v[235:236], s[22:23], -v[22:23]
	v_fma_f64 v[22:23], v[235:236], s[22:23], v[22:23]
	v_add_f64_e32 v[4:5], v[4:5], v[18:19]
	v_mul_f64_e32 v[18:19], s[16:17], v[253:254]
	s_delay_alu instid0(VALU_DEP_3) | instskip(NEXT) | instid1(VALU_DEP_2)
	v_add_f64_e32 v[22:23], v[22:23], v[30:31]
	v_fma_f64 v[6:7], v[237:238], s[22:23], v[18:19]
	v_fma_f64 v[18:19], v[237:238], s[22:23], -v[18:19]
	s_delay_alu instid0(VALU_DEP_2) | instskip(SKIP_2) | instid1(VALU_DEP_4)
	v_add_f64_e32 v[6:7], v[6:7], v[28:29]
	v_fma_f64 v[28:29], v[239:240], s[24:25], -v[24:25]
	v_fma_f64 v[24:25], v[239:240], s[24:25], v[24:25]
	v_add_f64_e32 v[18:19], v[18:19], v[32:33]
	s_delay_alu instid0(VALU_DEP_3) | instskip(SKIP_1) | instid1(VALU_DEP_4)
	v_add_f64_e32 v[28:29], v[28:29], v[4:5]
	v_fma_f64 v[4:5], v[241:242], s[24:25], v[42:43]
	v_add_f64_e32 v[22:23], v[24:25], v[22:23]
	v_fma_f64 v[24:25], v[241:242], s[24:25], -v[42:43]
	s_delay_alu instid0(VALU_DEP_3) | instskip(SKIP_1) | instid1(VALU_DEP_3)
	v_add_f64_e32 v[180:181], v[4:5], v[6:7]
	v_add_f64_e32 v[4:5], v[198:199], v[210:211]
	v_add_f64_e32 v[18:19], v[24:25], v[18:19]
	s_delay_alu instid0(VALU_DEP_2) | instskip(SKIP_1) | instid1(VALU_DEP_2)
	v_fma_f64 v[6:7], v[4:5], s[20:21], -v[184:185]
	v_fma_f64 v[24:25], v[4:5], s[20:21], v[184:185]
	v_add_f64_e32 v[28:29], v[6:7], v[28:29]
	v_add_f64_e32 v[6:7], v[200:201], v[212:213]
	s_delay_alu instid0(VALU_DEP_3) | instskip(NEXT) | instid1(VALU_DEP_2)
	v_add_f64_e32 v[22:23], v[24:25], v[22:23]
	v_fma_f64 v[182:183], v[6:7], s[20:21], v[142:143]
	v_fma_f64 v[24:25], v[6:7], s[20:21], -v[142:143]
	s_delay_alu instid0(VALU_DEP_2) | instskip(SKIP_1) | instid1(VALU_DEP_3)
	v_add_f64_e32 v[182:183], v[182:183], v[180:181]
	v_fma_f64 v[180:181], v[146:147], s[14:15], -v[186:187]
	v_add_f64_e32 v[18:19], v[24:25], v[18:19]
	v_fma_f64 v[24:25], v[146:147], s[14:15], v[186:187]
	s_delay_alu instid0(VALU_DEP_3) | instskip(SKIP_1) | instid1(VALU_DEP_3)
	v_add_f64_e32 v[180:181], v[180:181], v[28:29]
	v_add_f64_e64 v[28:29], v[202:203], -v[206:207]
	v_add_f64_e32 v[184:185], v[24:25], v[22:23]
	v_mul_f64_e32 v[22:23], s[12:13], v[251:252]
	v_mul_f64_e32 v[24:25], s[12:13], v[253:254]
	s_delay_alu instid0(VALU_DEP_4) | instskip(NEXT) | instid1(VALU_DEP_1)
	v_mul_f64_e32 v[150:151], s[10:11], v[28:29]
	v_fma_f64 v[30:31], v[148:149], s[14:15], -v[150:151]
	v_fma_f64 v[227:228], v[148:149], s[14:15], v[150:151]
	s_delay_alu instid0(VALU_DEP_2) | instskip(SKIP_4) | instid1(VALU_DEP_4)
	v_add_f64_e32 v[186:187], v[30:31], v[18:19]
	v_fma_f64 v[18:19], v[235:236], s[20:21], -v[22:23]
	v_mul_f64_e32 v[30:31], s[38:39], v[26:27]
	v_fma_f64 v[22:23], v[235:236], s[20:21], v[22:23]
	v_add_f64_e32 v[182:183], v[227:228], v[182:183]
	v_add_f64_e32 v[18:19], v[18:19], v[20:21]
	s_delay_alu instid0(VALU_DEP_4)
	v_fma_f64 v[32:33], v[239:240], s[14:15], -v[30:31]
	v_fma_f64 v[20:21], v[237:238], s[20:21], v[24:25]
	v_add_f64_e32 v[22:23], v[22:23], v[36:37]
	v_fma_f64 v[24:25], v[237:238], s[20:21], -v[24:25]
	v_fma_f64 v[30:31], v[239:240], s[14:15], v[30:31]
	v_add_f64_e32 v[18:19], v[32:33], v[18:19]
	v_mul_f64_e32 v[32:33], s[38:39], v[40:41]
	v_add_f64_e32 v[20:21], v[20:21], v[34:35]
	v_add_f64_e32 v[24:25], v[24:25], v[38:39]
	;; [unrolled: 1-line block ×3, first 2 shown]
	s_delay_alu instid0(VALU_DEP_4) | instskip(SKIP_1) | instid1(VALU_DEP_2)
	v_fma_f64 v[34:35], v[241:242], s[14:15], v[32:33]
	v_fma_f64 v[30:31], v[241:242], s[14:15], -v[32:33]
	v_add_f64_e32 v[20:21], v[34:35], v[20:21]
	s_wait_alu 0xfffe
	v_mul_f64_e32 v[34:35], s[30:31], v[16:17]
	s_delay_alu instid0(VALU_DEP_3) | instskip(NEXT) | instid1(VALU_DEP_2)
	v_add_f64_e32 v[24:25], v[30:31], v[24:25]
	v_fma_f64 v[42:43], v[4:5], s[24:25], -v[34:35]
	v_fma_f64 v[30:31], v[4:5], s[24:25], v[34:35]
	s_delay_alu instid0(VALU_DEP_2) | instskip(SKIP_1) | instid1(VALU_DEP_3)
	v_add_f64_e32 v[18:19], v[42:43], v[18:19]
	v_mul_f64_e32 v[42:43], s[30:31], v[140:141]
	v_add_f64_e32 v[22:23], v[30:31], v[22:23]
	s_delay_alu instid0(VALU_DEP_2) | instskip(SKIP_1) | instid1(VALU_DEP_2)
	v_fma_f64 v[142:143], v[6:7], s[24:25], v[42:43]
	v_fma_f64 v[30:31], v[6:7], s[24:25], -v[42:43]
	v_add_f64_e32 v[20:21], v[142:143], v[20:21]
	v_mul_f64_e32 v[142:143], s[34:35], v[144:145]
	s_delay_alu instid0(VALU_DEP_3) | instskip(NEXT) | instid1(VALU_DEP_2)
	v_add_f64_e32 v[24:25], v[30:31], v[24:25]
	v_fma_f64 v[150:151], v[146:147], s[26:27], -v[142:143]
	v_fma_f64 v[30:31], v[146:147], s[26:27], v[142:143]
	s_delay_alu instid0(VALU_DEP_2) | instskip(SKIP_1) | instid1(VALU_DEP_3)
	v_add_f64_e32 v[18:19], v[150:151], v[18:19]
	v_mul_f64_e32 v[150:151], s[34:35], v[28:29]
	v_add_f64_e32 v[22:23], v[30:31], v[22:23]
	v_mul_f64_e32 v[30:31], s[38:39], v[251:252]
	s_delay_alu instid0(VALU_DEP_3) | instskip(SKIP_2) | instid1(VALU_DEP_3)
	v_fma_f64 v[32:33], v[148:149], s[26:27], -v[150:151]
	v_fma_f64 v[227:228], v[148:149], s[26:27], v[150:151]
	v_mul_f64_e32 v[150:151], s[12:13], v[144:145]
	v_add_f64_e32 v[24:25], v[32:33], v[24:25]
	v_fma_f64 v[32:33], v[235:236], s[14:15], -v[30:31]
	v_fma_f64 v[30:31], v[235:236], s[14:15], v[30:31]
	v_add_f64_e32 v[20:21], v[227:228], v[20:21]
	v_mul_f64_e32 v[227:228], s[12:13], v[28:29]
	s_delay_alu instid0(VALU_DEP_4) | instskip(SKIP_2) | instid1(VALU_DEP_2)
	v_add_f64_e32 v[14:15], v[32:33], v[14:15]
	v_mul_f64_e32 v[32:33], s[38:39], v[253:254]
	v_add_f64_e32 v[10:11], v[30:31], v[10:11]
	v_fma_f64 v[34:35], v[237:238], s[14:15], v[32:33]
	v_fma_f64 v[30:31], v[237:238], s[14:15], -v[32:33]
	v_fma_f64 v[32:33], v[148:149], s[20:21], -v[227:228]
	s_delay_alu instid0(VALU_DEP_3) | instskip(SKIP_1) | instid1(VALU_DEP_4)
	v_add_f64_e32 v[12:13], v[34:35], v[12:13]
	v_mul_f64_e32 v[34:35], s[36:37], v[26:27]
	v_add_f64_e32 v[8:9], v[30:31], v[8:9]
	s_delay_alu instid0(VALU_DEP_2) | instskip(SKIP_1) | instid1(VALU_DEP_2)
	v_fma_f64 v[36:37], v[239:240], s[22:23], -v[34:35]
	v_fma_f64 v[30:31], v[239:240], s[22:23], v[34:35]
	v_add_f64_e32 v[14:15], v[36:37], v[14:15]
	v_mul_f64_e32 v[36:37], s[36:37], v[40:41]
	s_delay_alu instid0(VALU_DEP_3) | instskip(NEXT) | instid1(VALU_DEP_2)
	v_add_f64_e32 v[10:11], v[30:31], v[10:11]
	v_fma_f64 v[38:39], v[241:242], s[22:23], v[36:37]
	v_fma_f64 v[30:31], v[241:242], s[22:23], -v[36:37]
	s_delay_alu instid0(VALU_DEP_2) | instskip(SKIP_1) | instid1(VALU_DEP_3)
	v_add_f64_e32 v[12:13], v[38:39], v[12:13]
	v_mul_f64_e32 v[38:39], s[28:29], v[16:17]
	v_add_f64_e32 v[8:9], v[30:31], v[8:9]
	s_delay_alu instid0(VALU_DEP_2) | instskip(SKIP_1) | instid1(VALU_DEP_2)
	v_fma_f64 v[42:43], v[4:5], s[26:27], -v[38:39]
	v_fma_f64 v[30:31], v[4:5], s[26:27], v[38:39]
	v_add_f64_e32 v[14:15], v[42:43], v[14:15]
	v_mul_f64_e32 v[42:43], s[28:29], v[140:141]
	s_delay_alu instid0(VALU_DEP_3) | instskip(NEXT) | instid1(VALU_DEP_2)
	v_add_f64_e32 v[10:11], v[30:31], v[10:11]
	v_fma_f64 v[30:31], v[6:7], s[26:27], -v[42:43]
	v_fma_f64 v[142:143], v[6:7], s[26:27], v[42:43]
	s_delay_alu instid0(VALU_DEP_2) | instskip(SKIP_1) | instid1(VALU_DEP_3)
	v_add_f64_e32 v[30:31], v[30:31], v[8:9]
	v_fma_f64 v[8:9], v[146:147], s[20:21], v[150:151]
	v_add_f64_e32 v[142:143], v[142:143], v[12:13]
	v_fma_f64 v[12:13], v[146:147], s[20:21], -v[150:151]
	v_mul_f64_e32 v[150:151], s[36:37], v[144:145]
	s_delay_alu instid0(VALU_DEP_4)
	v_add_f64_e32 v[8:9], v[8:9], v[10:11]
	v_add_f64_e32 v[10:11], v[32:33], v[30:31]
	v_mul_f64_e32 v[30:31], s[30:31], v[251:252]
	v_add_f64_e32 v[12:13], v[12:13], v[14:15]
	v_fma_f64 v[14:15], v[148:149], s[20:21], v[227:228]
	v_mul_f64_e32 v[227:228], s[36:37], v[28:29]
	v_mul_f64_e32 v[28:29], s[18:19], v[28:29]
	v_fma_f64 v[32:33], v[235:236], s[24:25], -v[30:31]
	v_fma_f64 v[30:31], v[235:236], s[24:25], v[30:31]
	v_add_f64_e32 v[14:15], v[14:15], v[142:143]
	s_delay_alu instid0(VALU_DEP_3) | instskip(SKIP_1) | instid1(VALU_DEP_4)
	v_add_f64_e32 v[2:3], v[32:33], v[2:3]
	v_mul_f64_e32 v[32:33], s[30:31], v[253:254]
	v_add_f64_e32 v[30:31], v[30:31], v[249:250]
	s_delay_alu instid0(VALU_DEP_2) | instskip(SKIP_1) | instid1(VALU_DEP_2)
	v_fma_f64 v[34:35], v[237:238], s[24:25], v[32:33]
	v_fma_f64 v[32:33], v[237:238], s[24:25], -v[32:33]
	v_add_f64_e32 v[0:1], v[34:35], v[0:1]
	v_mul_f64_e32 v[34:35], s[28:29], v[26:27]
	s_delay_alu instid0(VALU_DEP_3) | instskip(SKIP_1) | instid1(VALU_DEP_3)
	v_add_f64_e32 v[32:33], v[32:33], v[247:248]
	v_mul_f64_e32 v[26:27], s[12:13], v[26:27]
	v_fma_f64 v[36:37], v[239:240], s[26:27], -v[34:35]
	v_fma_f64 v[34:35], v[239:240], s[26:27], v[34:35]
	s_delay_alu instid0(VALU_DEP_2) | instskip(SKIP_1) | instid1(VALU_DEP_3)
	v_add_f64_e32 v[2:3], v[36:37], v[2:3]
	v_mul_f64_e32 v[36:37], s[28:29], v[40:41]
	v_add_f64_e32 v[30:31], v[34:35], v[30:31]
	s_delay_alu instid0(VALU_DEP_2) | instskip(SKIP_2) | instid1(VALU_DEP_3)
	v_fma_f64 v[38:39], v[241:242], s[26:27], v[36:37]
	v_fma_f64 v[34:35], v[241:242], s[26:27], -v[36:37]
	v_fma_f64 v[36:37], v[148:149], s[22:23], -v[227:228]
	v_add_f64_e32 v[0:1], v[38:39], v[0:1]
	v_mul_f64_e32 v[38:39], s[10:11], v[16:17]
	s_delay_alu instid0(VALU_DEP_4) | instskip(SKIP_1) | instid1(VALU_DEP_3)
	v_add_f64_e32 v[32:33], v[34:35], v[32:33]
	v_mul_f64_e32 v[16:17], s[36:37], v[16:17]
	v_fma_f64 v[42:43], v[4:5], s[14:15], -v[38:39]
	v_fma_f64 v[34:35], v[4:5], s[14:15], v[38:39]
	v_fma_f64 v[38:39], v[239:240], s[20:21], -v[26:27]
	v_fma_f64 v[26:27], v[239:240], s[20:21], v[26:27]
	s_delay_alu instid0(VALU_DEP_4) | instskip(SKIP_2) | instid1(VALU_DEP_2)
	v_add_f64_e32 v[2:3], v[42:43], v[2:3]
	v_mul_f64_e32 v[42:43], s[10:11], v[140:141]
	v_add_f64_e32 v[30:31], v[34:35], v[30:31]
	v_fma_f64 v[34:35], v[6:7], s[14:15], -v[42:43]
	v_fma_f64 v[142:143], v[6:7], s[14:15], v[42:43]
	s_delay_alu instid0(VALU_DEP_2) | instskip(SKIP_1) | instid1(VALU_DEP_3)
	v_add_f64_e32 v[32:33], v[34:35], v[32:33]
	v_fma_f64 v[34:35], v[146:147], s[22:23], v[150:151]
	v_add_f64_e32 v[142:143], v[142:143], v[0:1]
	v_fma_f64 v[0:1], v[146:147], s[22:23], -v[150:151]
	s_delay_alu instid0(VALU_DEP_4) | instskip(NEXT) | instid1(VALU_DEP_4)
	v_add_f64_e32 v[249:250], v[36:37], v[32:33]
	v_add_f64_e32 v[247:248], v[34:35], v[30:31]
	v_mul_f64_e32 v[30:31], s[34:35], v[251:252]
	v_mul_f64_e32 v[34:35], s[34:35], v[253:254]
	v_add_f64_e32 v[0:1], v[0:1], v[2:3]
	v_fma_f64 v[2:3], v[148:149], s[22:23], v[227:228]
	s_delay_alu instid0(VALU_DEP_4) | instskip(NEXT) | instid1(VALU_DEP_4)
	v_fma_f64 v[32:33], v[235:236], s[26:27], -v[30:31]
	v_fma_f64 v[36:37], v[237:238], s[26:27], v[34:35]
	v_fma_f64 v[30:31], v[235:236], s[26:27], v[30:31]
	s_delay_alu instid0(VALU_DEP_4) | instskip(NEXT) | instid1(VALU_DEP_4)
	v_add_f64_e32 v[2:3], v[2:3], v[142:143]
	v_add_f64_e32 v[32:33], v[32:33], v[245:246]
	s_delay_alu instid0(VALU_DEP_4) | instskip(NEXT) | instid1(VALU_DEP_4)
	v_add_f64_e32 v[36:37], v[36:37], v[243:244]
	v_add_f64_e32 v[30:31], v[30:31], v[231:232]
	s_delay_alu instid0(VALU_DEP_3) | instskip(SKIP_1) | instid1(VALU_DEP_1)
	v_add_f64_e32 v[32:33], v[38:39], v[32:33]
	v_mul_f64_e32 v[38:39], s[12:13], v[40:41]
	v_fma_f64 v[40:41], v[241:242], s[20:21], v[38:39]
	s_delay_alu instid0(VALU_DEP_1) | instskip(SKIP_3) | instid1(VALU_DEP_3)
	v_add_f64_e32 v[36:37], v[40:41], v[36:37]
	v_fma_f64 v[40:41], v[4:5], s[22:23], -v[16:17]
	v_fma_f64 v[4:5], v[4:5], s[22:23], v[16:17]
	v_add_f64_e32 v[16:17], v[26:27], v[30:31]
	v_add_f64_e32 v[32:33], v[40:41], v[32:33]
	v_mul_f64_e32 v[40:41], s[36:37], v[140:141]
	s_delay_alu instid0(VALU_DEP_3) | instskip(SKIP_3) | instid1(VALU_DEP_2)
	v_add_f64_e32 v[4:5], v[4:5], v[16:17]
	scratch_load_b64 v[16:17], off, off offset:268 th:TH_LOAD_LU ; 8-byte Folded Reload
	v_fma_f64 v[42:43], v[6:7], s[22:23], v[40:41]
	v_fma_f64 v[6:7], v[6:7], s[22:23], -v[40:41]
	v_add_f64_e32 v[36:37], v[42:43], v[36:37]
	v_mul_f64_e32 v[42:43], s[18:19], v[144:145]
	s_delay_alu instid0(VALU_DEP_1) | instskip(SKIP_1) | instid1(VALU_DEP_2)
	v_fma_f64 v[140:141], v[146:147], s[24:25], -v[42:43]
	v_fma_f64 v[30:31], v[146:147], s[24:25], v[42:43]
	v_add_f64_e32 v[243:244], v[140:141], v[32:33]
	v_fma_f64 v[32:33], v[148:149], s[24:25], v[28:29]
	v_fma_f64 v[28:29], v[148:149], s[24:25], -v[28:29]
	s_delay_alu instid0(VALU_DEP_4) | instskip(NEXT) | instid1(VALU_DEP_3)
	v_add_f64_e32 v[4:5], v[30:31], v[4:5]
	v_add_f64_e32 v[245:246], v[32:33], v[36:37]
	v_fma_f64 v[32:33], v[237:238], s[26:27], -v[34:35]
	v_fma_f64 v[34:35], v[241:242], s[20:21], -v[38:39]
	s_delay_alu instid0(VALU_DEP_2) | instskip(NEXT) | instid1(VALU_DEP_1)
	v_add_f64_e32 v[32:33], v[32:33], v[233:234]
	v_add_f64_e32 v[26:27], v[34:35], v[32:33]
	s_delay_alu instid0(VALU_DEP_1) | instskip(SKIP_3) | instid1(VALU_DEP_3)
	v_add_f64_e32 v[6:7], v[6:7], v[26:27]
	v_add_f64_e32 v[26:27], v[229:230], v[192:193]
	s_wait_loadcnt 0x0
	v_add_f64_e32 v[16:17], v[16:17], v[190:191]
	v_add_f64_e32 v[6:7], v[28:29], v[6:7]
	s_delay_alu instid0(VALU_DEP_3) | instskip(NEXT) | instid1(VALU_DEP_3)
	v_add_f64_e32 v[26:27], v[26:27], v[196:197]
	v_add_f64_e32 v[16:17], v[16:17], v[194:195]
	s_delay_alu instid0(VALU_DEP_2) | instskip(NEXT) | instid1(VALU_DEP_2)
	v_add_f64_e32 v[26:27], v[26:27], v[200:201]
	v_add_f64_e32 v[16:17], v[16:17], v[198:199]
	s_delay_alu instid0(VALU_DEP_2) | instskip(NEXT) | instid1(VALU_DEP_2)
	;; [unrolled: 3-line block ×7, first 2 shown]
	v_add_f64_e32 v[192:193], v[26:27], v[222:223]
	v_add_f64_e32 v[190:191], v[16:17], v[225:226]
	ds_store_b128 v255, v[18:21] offset:5280
	ds_store_b128 v255, v[12:15] offset:7920
	;; [unrolled: 1-line block ×10, first 2 shown]
	ds_store_b128 v255, v[190:193]
	global_wb scope:SCOPE_SE
	s_wait_storecnt_dscnt 0x0
	s_barrier_signal -1
	s_barrier_wait -1
	global_inv scope:SCOPE_SE
	global_load_b128 v[0:3], v[188:189], off offset:29040
	ds_load_b128 v[4:7], v255
	ds_load_b128 v[8:11], v255 offset:2640
	ds_load_b128 v[18:21], v255 offset:26400
	s_wait_loadcnt_dscnt 0x2
	v_mul_f64_e32 v[12:13], v[6:7], v[2:3]
	v_mul_f64_e32 v[14:15], v[4:5], v[2:3]
	s_delay_alu instid0(VALU_DEP_2) | instskip(NEXT) | instid1(VALU_DEP_2)
	v_fma_f64 v[2:3], v[4:5], v[0:1], -v[12:13]
	v_fma_f64 v[4:5], v[6:7], v[0:1], v[14:15]
	global_load_b128 v[12:15], v255, s[8:9] offset:2640
	s_wait_loadcnt_dscnt 0x1
	v_mul_f64_e32 v[0:1], v[10:11], v[14:15]
	v_mul_f64_e32 v[14:15], v[8:9], v[14:15]
	s_delay_alu instid0(VALU_DEP_2) | instskip(NEXT) | instid1(VALU_DEP_2)
	v_fma_f64 v[6:7], v[8:9], v[12:13], -v[0:1]
	v_fma_f64 v[8:9], v[10:11], v[12:13], v[14:15]
	s_clause 0x1
	global_load_b128 v[10:13], v255, s[8:9] offset:5280
	global_load_b128 v[22:25], v255, s[8:9] offset:7920
	ds_load_b128 v[180:183], v255 offset:5280
	ds_load_b128 v[184:187], v255 offset:7920
	s_wait_loadcnt_dscnt 0x101
	v_mul_f64_e32 v[0:1], v[182:183], v[12:13]
	v_mul_f64_e32 v[14:15], v[180:181], v[12:13]
	s_delay_alu instid0(VALU_DEP_2) | instskip(NEXT) | instid1(VALU_DEP_2)
	v_fma_f64 v[12:13], v[180:181], v[10:11], -v[0:1]
	v_fma_f64 v[14:15], v[182:183], v[10:11], v[14:15]
	s_wait_loadcnt_dscnt 0x0
	v_mul_f64_e32 v[0:1], v[186:187], v[24:25]
	v_mul_f64_e32 v[10:11], v[184:185], v[24:25]
	s_delay_alu instid0(VALU_DEP_2) | instskip(NEXT) | instid1(VALU_DEP_2)
	v_fma_f64 v[24:25], v[184:185], v[22:23], -v[0:1]
	v_fma_f64 v[26:27], v[186:187], v[22:23], v[10:11]
	s_clause 0x1
	global_load_b128 v[180:183], v255, s[8:9] offset:10560
	global_load_b128 v[184:187], v255, s[8:9] offset:13200
	ds_load_b128 v[188:191], v255 offset:10560
	ds_load_b128 v[192:195], v255 offset:13200
	s_wait_loadcnt_dscnt 0x101
	v_mul_f64_e32 v[0:1], v[190:191], v[182:183]
	v_mul_f64_e32 v[10:11], v[188:189], v[182:183]
	s_delay_alu instid0(VALU_DEP_2) | instskip(NEXT) | instid1(VALU_DEP_2)
	v_fma_f64 v[188:189], v[188:189], v[180:181], -v[0:1]
	v_fma_f64 v[190:191], v[190:191], v[180:181], v[10:11]
	;; [unrolled: 17-line block ×4, first 2 shown]
	s_wait_loadcnt_dscnt 0x0
	v_mul_f64_e32 v[0:1], v[210:211], v[202:203]
	v_mul_f64_e32 v[10:11], v[208:209], v[202:203]
	s_delay_alu instid0(VALU_DEP_2) | instskip(NEXT) | instid1(VALU_DEP_2)
	v_fma_f64 v[192:193], v[208:209], v[200:201], -v[0:1]
	v_fma_f64 v[194:195], v[210:211], v[200:201], v[10:11]
	global_load_b128 v[200:203], v255, s[8:9] offset:26400
	s_mov_b32 s9, 0x3fe82f19
	s_mov_b32 s8, s12
	s_wait_loadcnt 0x0
	v_mul_f64_e32 v[0:1], v[20:21], v[202:203]
	v_mul_f64_e32 v[10:11], v[18:19], v[202:203]
	s_delay_alu instid0(VALU_DEP_2) | instskip(NEXT) | instid1(VALU_DEP_2)
	v_fma_f64 v[18:19], v[18:19], v[200:201], -v[0:1]
	v_fma_f64 v[20:21], v[20:21], v[200:201], v[10:11]
	ds_store_b128 v255, v[2:5]
	ds_store_b128 v255, v[6:9] offset:2640
	ds_store_b128 v255, v[12:15] offset:5280
	;; [unrolled: 1-line block ×10, first 2 shown]
	global_wb scope:SCOPE_SE
	s_wait_dscnt 0x0
	s_barrier_signal -1
	s_barrier_wait -1
	global_inv scope:SCOPE_SE
	ds_load_b128 v[180:183], v255
	ds_load_b128 v[184:187], v255 offset:2640
	ds_load_b128 v[188:191], v255 offset:5280
	;; [unrolled: 1-line block ×3, first 2 shown]
	s_wait_dscnt 0x2
	v_add_f64_e32 v[0:1], v[180:181], v[184:185]
	v_add_f64_e32 v[2:3], v[182:183], v[186:187]
	s_wait_dscnt 0x1
	s_delay_alu instid0(VALU_DEP_2) | instskip(NEXT) | instid1(VALU_DEP_2)
	v_add_f64_e32 v[0:1], v[0:1], v[188:189]
	v_add_f64_e32 v[2:3], v[2:3], v[190:191]
	s_wait_dscnt 0x0
	s_delay_alu instid0(VALU_DEP_2) | instskip(NEXT) | instid1(VALU_DEP_2)
	v_add_f64_e32 v[4:5], v[0:1], v[192:193]
	v_add_f64_e32 v[6:7], v[2:3], v[194:195]
	ds_load_b128 v[196:199], v255 offset:10560
	ds_load_b128 v[0:3], v255 offset:13200
	s_wait_dscnt 0x1
	v_add_f64_e32 v[4:5], v[4:5], v[196:197]
	v_add_f64_e32 v[6:7], v[6:7], v[198:199]
	s_wait_dscnt 0x0
	s_delay_alu instid0(VALU_DEP_2) | instskip(NEXT) | instid1(VALU_DEP_2)
	v_add_f64_e32 v[12:13], v[4:5], v[0:1]
	v_add_f64_e32 v[14:15], v[6:7], v[2:3]
	ds_load_b128 v[4:7], v255 offset:15840
	ds_load_b128 v[8:11], v255 offset:18480
	s_wait_dscnt 0x1
	v_add_f64_e32 v[200:201], v[0:1], v[4:5]
	v_add_f64_e32 v[16:17], v[2:3], v[6:7]
	v_add_f64_e64 v[202:203], v[0:1], -v[4:5]
	v_add_f64_e64 v[26:27], v[2:3], -v[6:7]
	s_wait_dscnt 0x0
	v_add_f64_e32 v[204:205], v[196:197], v[8:9]
	v_add_f64_e32 v[28:29], v[198:199], v[10:11]
	v_add_f64_e64 v[196:197], v[196:197], -v[8:9]
	v_add_f64_e64 v[30:31], v[198:199], -v[10:11]
	v_add_f64_e32 v[0:1], v[12:13], v[4:5]
	v_add_f64_e32 v[2:3], v[14:15], v[6:7]
	v_mul_f64_e32 v[233:234], s[14:15], v[16:17]
	v_mul_f64_e32 v[231:232], s[10:11], v[26:27]
	;; [unrolled: 1-line block ×4, first 2 shown]
	v_add_f64_e32 v[8:9], v[0:1], v[8:9]
	v_add_f64_e32 v[10:11], v[2:3], v[10:11]
	ds_load_b128 v[0:3], v255 offset:21120
	ds_load_b128 v[4:7], v255 offset:23760
	s_wait_dscnt 0x1
	v_add_f64_e32 v[198:199], v[192:193], v[0:1]
	v_add_f64_e32 v[32:33], v[194:195], v[2:3]
	v_add_f64_e64 v[192:193], v[192:193], -v[0:1]
	v_add_f64_e64 v[34:35], v[194:195], -v[2:3]
	s_wait_dscnt 0x0
	v_add_f64_e32 v[36:37], v[190:191], v[6:7]
	v_add_f64_e64 v[38:39], v[190:191], -v[6:7]
	v_add_f64_e32 v[8:9], v[8:9], v[0:1]
	v_add_f64_e32 v[10:11], v[10:11], v[2:3]
	;; [unrolled: 1-line block ×3, first 2 shown]
	v_add_f64_e64 v[2:3], v[188:189], -v[4:5]
	v_mul_f64_e32 v[225:226], s[24:25], v[32:33]
	v_mul_f64_e32 v[222:223], s[18:19], v[34:35]
	v_add_f64_e32 v[8:9], v[8:9], v[4:5]
	v_add_f64_e32 v[10:11], v[10:11], v[6:7]
	ds_load_b128 v[4:7], v255 offset:26400
	global_wb scope:SCOPE_SE
	s_wait_dscnt 0x0
	s_barrier_signal -1
	s_barrier_wait -1
	global_inv scope:SCOPE_SE
	v_add_f64_e64 v[12:13], v[186:187], -v[6:7]
	v_add_f64_e32 v[14:15], v[184:185], v[4:5]
	v_add_f64_e64 v[20:21], v[184:185], -v[4:5]
	v_add_f64_e32 v[18:19], v[186:187], v[6:7]
	v_add_f64_e32 v[184:185], v[8:9], v[4:5]
	;; [unrolled: 1-line block ×3, first 2 shown]
	v_mul_f64_e32 v[8:9], s[18:19], v[12:13]
	v_mul_f64_e32 v[4:5], s[28:29], v[12:13]
	v_mul_f64_e32 v[6:7], s[16:17], v[12:13]
	v_mul_f64_e32 v[10:11], s[12:13], v[12:13]
	v_mul_f64_e32 v[12:13], s[10:11], v[12:13]
	v_mul_f64_e32 v[144:145], s[24:25], v[18:19]
	v_mul_f64_e32 v[146:147], s[20:21], v[18:19]
	v_fma_f64 v[42:43], v[14:15], s[24:25], v[8:9]
	v_fma_f64 v[8:9], v[14:15], s[24:25], -v[8:9]
	v_fma_f64 v[22:23], v[14:15], s[26:27], v[4:5]
	v_fma_f64 v[4:5], v[14:15], s[26:27], -v[4:5]
	;; [unrolled: 2-line block ×5, first 2 shown]
	v_mul_f64_e32 v[6:7], s[26:27], v[18:19]
	v_mul_f64_e32 v[14:15], s[22:23], v[18:19]
	;; [unrolled: 1-line block ×3, first 2 shown]
	v_fma_f64 v[188:189], v[20:21], s[30:31], v[144:145]
	v_fma_f64 v[144:145], v[20:21], s[18:19], v[144:145]
	s_wait_alu 0xfffe
	v_fma_f64 v[190:191], v[20:21], s[8:9], v[146:147]
	v_fma_f64 v[146:147], v[20:21], s[12:13], v[146:147]
	v_add_f64_e32 v[42:43], v[180:181], v[42:43]
	v_add_f64_e32 v[208:209], v[180:181], v[8:9]
	v_mul_f64_e32 v[8:9], s[16:17], v[38:39]
	v_add_f64_e32 v[4:5], v[180:181], v[4:5]
	v_add_f64_e32 v[24:25], v[180:181], v[24:25]
	;; [unrolled: 1-line block ×7, first 2 shown]
	v_fma_f64 v[148:149], v[20:21], s[34:35], v[6:7]
	v_fma_f64 v[6:7], v[20:21], s[28:29], v[6:7]
	;; [unrolled: 1-line block ×6, first 2 shown]
	v_add_f64_e32 v[20:21], v[180:181], v[22:23]
	v_add_f64_e32 v[206:207], v[182:183], v[188:189]
	v_add_f64_e32 v[210:211], v[182:183], v[190:191]
	v_add_f64_e32 v[144:145], v[182:183], v[144:145]
	v_add_f64_e32 v[146:147], v[182:183], v[146:147]
	v_fma_f64 v[10:11], v[0:1], s[22:23], v[8:9]
	v_add_f64_e32 v[22:23], v[182:183], v[148:149]
	v_add_f64_e32 v[6:7], v[182:183], v[6:7]
	;; [unrolled: 1-line block ×6, first 2 shown]
	v_fma_f64 v[18:19], v[198:199], s[24:25], v[222:223]
	v_add_f64_e32 v[12:13], v[10:11], v[20:21]
	v_mul_f64_e32 v[10:11], s[22:23], v[36:37]
	v_mul_f64_e32 v[20:21], s[20:21], v[36:37]
	s_delay_alu instid0(VALU_DEP_3) | instskip(NEXT) | instid1(VALU_DEP_3)
	v_add_f64_e32 v[12:13], v[18:19], v[12:13]
	v_fma_f64 v[14:15], v[2:3], s[36:37], v[10:11]
	v_fma_f64 v[18:19], v[192:193], s[30:31], v[225:226]
	s_delay_alu instid0(VALU_DEP_2) | instskip(SKIP_1) | instid1(VALU_DEP_2)
	v_add_f64_e32 v[14:15], v[14:15], v[22:23]
	v_mul_f64_e32 v[22:23], s[38:39], v[34:35]
	v_add_f64_e32 v[14:15], v[18:19], v[14:15]
	v_fma_f64 v[18:19], v[204:205], s[20:21], v[227:228]
	s_delay_alu instid0(VALU_DEP_1) | instskip(SKIP_1) | instid1(VALU_DEP_1)
	v_add_f64_e32 v[12:13], v[18:19], v[12:13]
	v_fma_f64 v[18:19], v[196:197], s[8:9], v[229:230]
	v_add_f64_e32 v[14:15], v[18:19], v[14:15]
	v_fma_f64 v[18:19], v[200:201], s[14:15], v[231:232]
	s_delay_alu instid0(VALU_DEP_1) | instskip(SKIP_2) | instid1(VALU_DEP_2)
	v_add_f64_e32 v[188:189], v[18:19], v[12:13]
	v_fma_f64 v[12:13], v[202:203], s[38:39], v[233:234]
	v_mul_f64_e32 v[18:19], s[12:13], v[38:39]
	v_add_f64_e32 v[190:191], v[12:13], v[14:15]
	s_delay_alu instid0(VALU_DEP_2) | instskip(SKIP_3) | instid1(VALU_DEP_4)
	v_fma_f64 v[12:13], v[0:1], s[20:21], v[18:19]
	v_fma_f64 v[14:15], v[2:3], s[8:9], v[20:21]
	v_fma_f64 v[18:19], v[0:1], s[20:21], -v[18:19]
	v_fma_f64 v[20:21], v[2:3], s[12:13], v[20:21]
	v_add_f64_e32 v[12:13], v[12:13], v[24:25]
	v_fma_f64 v[24:25], v[198:199], s[14:15], v[22:23]
	v_add_f64_e32 v[14:15], v[14:15], v[148:149]
	v_add_f64_e32 v[18:19], v[18:19], v[40:41]
	v_fma_f64 v[22:23], v[198:199], s[14:15], -v[22:23]
	v_add_f64_e32 v[20:21], v[20:21], v[150:151]
	v_mul_f64_e32 v[40:41], s[36:37], v[34:35]
	v_add_f64_e32 v[12:13], v[24:25], v[12:13]
	v_mul_f64_e32 v[24:25], s[14:15], v[32:33]
	v_add_f64_e32 v[18:19], v[22:23], v[18:19]
	s_delay_alu instid0(VALU_DEP_2) | instskip(SKIP_1) | instid1(VALU_DEP_2)
	v_fma_f64 v[148:149], v[192:193], s[10:11], v[24:25]
	v_fma_f64 v[22:23], v[192:193], s[38:39], v[24:25]
	v_add_f64_e32 v[14:15], v[148:149], v[14:15]
	v_mul_f64_e32 v[148:149], s[30:31], v[30:31]
	s_delay_alu instid0(VALU_DEP_3) | instskip(NEXT) | instid1(VALU_DEP_2)
	v_add_f64_e32 v[20:21], v[22:23], v[20:21]
	v_fma_f64 v[180:181], v[204:205], s[24:25], v[148:149]
	v_fma_f64 v[22:23], v[204:205], s[24:25], -v[148:149]
	s_delay_alu instid0(VALU_DEP_2) | instskip(SKIP_1) | instid1(VALU_DEP_3)
	v_add_f64_e32 v[12:13], v[180:181], v[12:13]
	v_mul_f64_e32 v[180:181], s[24:25], v[28:29]
	v_add_f64_e32 v[18:19], v[22:23], v[18:19]
	s_delay_alu instid0(VALU_DEP_2) | instskip(SKIP_1) | instid1(VALU_DEP_2)
	v_fma_f64 v[182:183], v[196:197], s[18:19], v[180:181]
	v_fma_f64 v[22:23], v[196:197], s[30:31], v[180:181]
	v_add_f64_e32 v[14:15], v[182:183], v[14:15]
	v_mul_f64_e32 v[182:183], s[34:35], v[26:27]
	s_delay_alu instid0(VALU_DEP_3) | instskip(NEXT) | instid1(VALU_DEP_2)
	v_add_f64_e32 v[20:21], v[22:23], v[20:21]
	v_fma_f64 v[214:215], v[200:201], s[26:27], v[182:183]
	v_fma_f64 v[22:23], v[200:201], s[26:27], -v[182:183]
	s_delay_alu instid0(VALU_DEP_2) | instskip(SKIP_1) | instid1(VALU_DEP_3)
	v_add_f64_e32 v[12:13], v[214:215], v[12:13]
	v_mul_f64_e32 v[214:215], s[26:27], v[16:17]
	v_add_f64_e32 v[180:181], v[22:23], v[18:19]
	v_mul_f64_e32 v[22:23], s[38:39], v[38:39]
	s_delay_alu instid0(VALU_DEP_3) | instskip(SKIP_1) | instid1(VALU_DEP_3)
	v_fma_f64 v[24:25], v[202:203], s[34:35], v[214:215]
	v_fma_f64 v[216:217], v[202:203], s[28:29], v[214:215]
	;; [unrolled: 1-line block ×3, first 2 shown]
	v_fma_f64 v[22:23], v[0:1], s[14:15], -v[22:23]
	s_delay_alu instid0(VALU_DEP_4) | instskip(SKIP_1) | instid1(VALU_DEP_4)
	v_add_f64_e32 v[182:183], v[24:25], v[20:21]
	v_mul_f64_e32 v[24:25], s[14:15], v[36:37]
	v_add_f64_e32 v[18:19], v[18:19], v[42:43]
	v_fma_f64 v[42:43], v[198:199], s[22:23], v[40:41]
	v_add_f64_e32 v[22:23], v[22:23], v[208:209]
	v_fma_f64 v[40:41], v[198:199], s[22:23], -v[40:41]
	v_add_f64_e32 v[14:15], v[216:217], v[14:15]
	v_fma_f64 v[20:21], v[2:3], s[10:11], v[24:25]
	v_fma_f64 v[24:25], v[2:3], s[38:39], v[24:25]
	v_add_f64_e32 v[18:19], v[42:43], v[18:19]
	v_mul_f64_e32 v[42:43], s[22:23], v[32:33]
	v_add_f64_e32 v[22:23], v[40:41], v[22:23]
	v_add_f64_e32 v[20:21], v[20:21], v[206:207]
	;; [unrolled: 1-line block ×3, first 2 shown]
	s_delay_alu instid0(VALU_DEP_4) | instskip(SKIP_1) | instid1(VALU_DEP_2)
	v_fma_f64 v[148:149], v[192:193], s[16:17], v[42:43]
	v_fma_f64 v[40:41], v[192:193], s[36:37], v[42:43]
	v_add_f64_e32 v[20:21], v[148:149], v[20:21]
	v_mul_f64_e32 v[148:149], s[28:29], v[30:31]
	s_delay_alu instid0(VALU_DEP_3) | instskip(NEXT) | instid1(VALU_DEP_2)
	v_add_f64_e32 v[24:25], v[40:41], v[24:25]
	v_fma_f64 v[150:151], v[204:205], s[26:27], v[148:149]
	v_fma_f64 v[40:41], v[204:205], s[26:27], -v[148:149]
	v_mul_f64_e32 v[148:149], s[28:29], v[34:35]
	v_mul_f64_e32 v[34:35], s[12:13], v[34:35]
	s_delay_alu instid0(VALU_DEP_4) | instskip(SKIP_2) | instid1(VALU_DEP_2)
	v_add_f64_e32 v[18:19], v[150:151], v[18:19]
	v_mul_f64_e32 v[150:151], s[26:27], v[28:29]
	v_add_f64_e32 v[22:23], v[40:41], v[22:23]
	v_fma_f64 v[206:207], v[196:197], s[34:35], v[150:151]
	v_fma_f64 v[40:41], v[196:197], s[28:29], v[150:151]
	;; [unrolled: 1-line block ×3, first 2 shown]
	s_delay_alu instid0(VALU_DEP_3) | instskip(SKIP_1) | instid1(VALU_DEP_4)
	v_add_f64_e32 v[20:21], v[206:207], v[20:21]
	v_mul_f64_e32 v[206:207], s[12:13], v[26:27]
	v_add_f64_e32 v[24:25], v[40:41], v[24:25]
	s_delay_alu instid0(VALU_DEP_2) | instskip(SKIP_1) | instid1(VALU_DEP_2)
	v_fma_f64 v[214:215], v[200:201], s[20:21], v[206:207]
	v_fma_f64 v[40:41], v[200:201], s[20:21], -v[206:207]
	v_add_f64_e32 v[18:19], v[214:215], v[18:19]
	v_mul_f64_e32 v[214:215], s[20:21], v[16:17]
	s_delay_alu instid0(VALU_DEP_3) | instskip(SKIP_2) | instid1(VALU_DEP_4)
	v_add_f64_e32 v[22:23], v[40:41], v[22:23]
	v_mul_f64_e32 v[40:41], s[30:31], v[38:39]
	v_mul_f64_e32 v[38:39], s[34:35], v[38:39]
	v_fma_f64 v[42:43], v[202:203], s[12:13], v[214:215]
	v_fma_f64 v[216:217], v[202:203], s[8:9], v[214:215]
	v_mul_f64_e32 v[214:215], s[14:15], v[28:29]
	v_mul_f64_e32 v[28:29], s[22:23], v[28:29]
	s_delay_alu instid0(VALU_DEP_4)
	v_add_f64_e32 v[24:25], v[42:43], v[24:25]
	v_fma_f64 v[42:43], v[0:1], s[24:25], v[40:41]
	v_add_f64_e32 v[20:21], v[216:217], v[20:21]
	v_mul_f64_e32 v[216:217], s[36:37], v[26:27]
	v_fma_f64 v[40:41], v[0:1], s[24:25], -v[40:41]
	v_mul_f64_e32 v[26:27], s[18:19], v[26:27]
	v_add_f64_e32 v[42:43], v[42:43], v[140:141]
	v_mul_f64_e32 v[140:141], s[24:25], v[36:37]
	v_mul_f64_e32 v[36:37], s[26:27], v[36:37]
	v_add_f64_e32 v[40:41], v[40:41], v[212:213]
	s_delay_alu instid0(VALU_DEP_4) | instskip(NEXT) | instid1(VALU_DEP_4)
	v_add_f64_e32 v[42:43], v[150:151], v[42:43]
	v_fma_f64 v[144:145], v[2:3], s[18:19], v[140:141]
	v_mul_f64_e32 v[150:151], s[26:27], v[32:33]
	v_fma_f64 v[140:141], v[2:3], s[30:31], v[140:141]
	v_mul_f64_e32 v[32:33], s[20:21], v[32:33]
	s_delay_alu instid0(VALU_DEP_4) | instskip(NEXT) | instid1(VALU_DEP_4)
	v_add_f64_e32 v[144:145], v[144:145], v[210:211]
	v_fma_f64 v[206:207], v[192:193], s[34:35], v[150:151]
	v_mul_f64_e32 v[210:211], s[10:11], v[30:31]
	v_add_f64_e32 v[140:141], v[140:141], v[146:147]
	v_mul_f64_e32 v[30:31], s[36:37], v[30:31]
	s_delay_alu instid0(VALU_DEP_4) | instskip(NEXT) | instid1(VALU_DEP_4)
	v_add_f64_e32 v[144:145], v[206:207], v[144:145]
	v_fma_f64 v[206:207], v[204:205], s[14:15], v[210:211]
	s_delay_alu instid0(VALU_DEP_1) | instskip(SKIP_1) | instid1(VALU_DEP_1)
	v_add_f64_e32 v[42:43], v[206:207], v[42:43]
	v_fma_f64 v[206:207], v[196:197], s[38:39], v[214:215]
	v_add_f64_e32 v[144:145], v[206:207], v[144:145]
	v_fma_f64 v[206:207], v[200:201], s[22:23], v[216:217]
	s_delay_alu instid0(VALU_DEP_1) | instskip(SKIP_2) | instid1(VALU_DEP_2)
	v_add_f64_e32 v[206:207], v[206:207], v[42:43]
	v_mul_f64_e32 v[42:43], s[22:23], v[16:17]
	v_mul_f64_e32 v[16:17], s[24:25], v[16:17]
	v_fma_f64 v[208:209], v[202:203], s[16:17], v[42:43]
	v_fma_f64 v[42:43], v[202:203], s[36:37], v[42:43]
	s_delay_alu instid0(VALU_DEP_2) | instskip(SKIP_1) | instid1(VALU_DEP_1)
	v_add_f64_e32 v[208:209], v[208:209], v[144:145]
	v_fma_f64 v[144:145], v[198:199], s[26:27], -v[148:149]
	v_add_f64_e32 v[40:41], v[144:145], v[40:41]
	v_fma_f64 v[144:145], v[192:193], s[28:29], v[150:151]
	s_delay_alu instid0(VALU_DEP_1) | instskip(SKIP_1) | instid1(VALU_DEP_1)
	v_add_f64_e32 v[140:141], v[144:145], v[140:141]
	v_fma_f64 v[144:145], v[204:205], s[14:15], -v[210:211]
	v_add_f64_e32 v[40:41], v[144:145], v[40:41]
	v_fma_f64 v[144:145], v[196:197], s[10:11], v[214:215]
	s_delay_alu instid0(VALU_DEP_1) | instskip(SKIP_1) | instid1(VALU_DEP_2)
	v_add_f64_e32 v[140:141], v[144:145], v[140:141]
	v_fma_f64 v[144:145], v[200:201], s[22:23], -v[216:217]
	v_add_f64_e32 v[212:213], v[42:43], v[140:141]
	s_delay_alu instid0(VALU_DEP_2)
	v_add_f64_e32 v[210:211], v[144:145], v[40:41]
	v_fma_f64 v[40:41], v[0:1], s[26:27], v[38:39]
	v_fma_f64 v[42:43], v[2:3], s[28:29], v[36:37]
	;; [unrolled: 1-line block ×3, first 2 shown]
	v_fma_f64 v[38:39], v[0:1], s[26:27], -v[38:39]
	v_fma_f64 v[36:37], v[2:3], s[34:35], v[36:37]
	v_fma_f64 v[0:1], v[0:1], s[22:23], -v[8:9]
	v_fma_f64 v[2:3], v[2:3], s[16:17], v[10:11]
	v_fma_f64 v[34:35], v[198:199], s[20:21], -v[34:35]
	v_fma_f64 v[8:9], v[198:199], s[24:25], -v[222:223]
	v_fma_f64 v[10:11], v[192:193], s[18:19], v[225:226]
	v_add_f64_e32 v[40:41], v[40:41], v[142:143]
	v_add_f64_e32 v[42:43], v[42:43], v[194:195]
	v_add_f64_e32 v[38:39], v[38:39], v[218:219]
	v_add_f64_e32 v[36:37], v[36:37], v[220:221]
	v_add_f64_e32 v[0:1], v[0:1], v[4:5]
	v_add_f64_e32 v[2:3], v[2:3], v[6:7]
	v_fma_f64 v[4:5], v[204:205], s[20:21], -v[227:228]
	v_fma_f64 v[6:7], v[196:197], s[12:13], v[229:230]
	v_add_f64_e32 v[40:41], v[140:141], v[40:41]
	v_fma_f64 v[140:141], v[192:193], s[8:9], v[32:33]
	v_fma_f64 v[32:33], v[192:193], s[12:13], v[32:33]
	v_add_f64_e32 v[34:35], v[34:35], v[38:39]
	v_add_f64_e32 v[0:1], v[8:9], v[0:1]
	;; [unrolled: 1-line block ×3, first 2 shown]
	v_fma_f64 v[8:9], v[200:201], s[14:15], -v[231:232]
	v_fma_f64 v[10:11], v[202:203], s[10:11], v[233:234]
	v_add_f64_e32 v[42:43], v[140:141], v[42:43]
	v_fma_f64 v[140:141], v[204:205], s[22:23], v[30:31]
	v_add_f64_e32 v[32:33], v[32:33], v[36:37]
	v_fma_f64 v[30:31], v[204:205], s[22:23], -v[30:31]
	v_add_f64_e32 v[0:1], v[4:5], v[0:1]
	v_add_f64_e32 v[2:3], v[6:7], v[2:3]
	v_add_f64_e32 v[40:41], v[140:141], v[40:41]
	v_fma_f64 v[140:141], v[196:197], s[16:17], v[28:29]
	v_fma_f64 v[28:29], v[196:197], s[36:37], v[28:29]
	v_add_f64_e32 v[30:31], v[30:31], v[34:35]
	v_add_f64_e32 v[196:197], v[8:9], v[0:1]
	;; [unrolled: 1-line block ×4, first 2 shown]
	v_fma_f64 v[140:141], v[200:201], s[24:25], v[26:27]
	v_add_f64_e32 v[28:29], v[28:29], v[32:33]
	v_fma_f64 v[26:27], v[200:201], s[24:25], -v[26:27]
	s_delay_alu instid0(VALU_DEP_3) | instskip(SKIP_2) | instid1(VALU_DEP_4)
	v_add_f64_e32 v[214:215], v[140:141], v[40:41]
	v_fma_f64 v[40:41], v[202:203], s[30:31], v[16:17]
	v_fma_f64 v[16:17], v[202:203], s[18:19], v[16:17]
	v_add_f64_e32 v[218:219], v[26:27], v[30:31]
	s_delay_alu instid0(VALU_DEP_3) | instskip(NEXT) | instid1(VALU_DEP_3)
	v_add_f64_e32 v[216:217], v[40:41], v[42:43]
	v_add_f64_e32 v[220:221], v[16:17], v[28:29]
	ds_store_b128 v224, v[12:15] offset:32
	ds_store_b128 v224, v[18:21] offset:48
	;; [unrolled: 1-line block ×7, first 2 shown]
	ds_store_b128 v224, v[184:187]
	ds_store_b128 v224, v[22:25] offset:128
	ds_store_b128 v224, v[180:183] offset:144
	;; [unrolled: 1-line block ×3, first 2 shown]
	global_wb scope:SCOPE_SE
	s_wait_dscnt 0x0
	s_barrier_signal -1
	s_barrier_wait -1
	global_inv scope:SCOPE_SE
	ds_load_b128 v[184:187], v255
	ds_load_b128 v[188:191], v255 offset:2640
	ds_load_b128 v[200:203], v255 offset:19360
	;; [unrolled: 1-line block ×8, first 2 shown]
	s_and_saveexec_b32 s1, s0
	s_cbranch_execz .LBB0_11
; %bb.10:
	ds_load_b128 v[180:183], v255 offset:7920
	ds_load_b128 v[196:199], v255 offset:17600
	;; [unrolled: 1-line block ×3, first 2 shown]
.LBB0_11:
	s_wait_alu 0xfffe
	s_or_b32 exec_lo, exec_lo, s1
	s_wait_dscnt 0x5
	v_mul_f64_e32 v[10:11], v[74:75], v[206:207]
	s_wait_dscnt 0x2
	v_mul_f64_e32 v[12:13], v[58:59], v[216:217]
	;; [unrolled: 2-line block ×3, first 2 shown]
	v_mul_f64_e32 v[14:15], v[74:75], v[204:205]
	s_wait_dscnt 0x0
	v_mul_f64_e32 v[18:19], v[62:63], v[214:215]
	v_mul_f64_e32 v[20:21], v[66:67], v[208:209]
	;; [unrolled: 1-line block ×7, first 2 shown]
	global_wb scope:SCOPE_SE
	s_barrier_signal -1
	s_barrier_wait -1
	global_inv scope:SCOPE_SE
	v_mul_f64_e32 v[0:1], v[90:91], v[222:223]
	v_mul_f64_e32 v[24:25], v[82:83], v[198:199]
	;; [unrolled: 1-line block ×5, first 2 shown]
	s_mov_b32 s8, 0xe8584caa
	s_mov_b32 s9, 0xbfebb67a
	;; [unrolled: 1-line block ×3, first 2 shown]
	s_wait_alu 0xfffe
	s_mov_b32 s10, s8
	v_fma_f64 v[40:41], v[72:73], v[204:205], v[10:11]
	v_fma_f64 v[10:11], v[56:57], v[218:219], -v[12:13]
	v_fma_f64 v[12:13], v[64:65], v[208:209], v[16:17]
	v_fma_f64 v[14:15], v[72:73], v[206:207], -v[14:15]
	v_fma_f64 v[16:17], v[60:61], v[212:213], v[18:19]
	v_fma_f64 v[18:19], v[64:65], v[210:211], -v[20:21]
	v_fma_f64 v[20:21], v[60:61], v[214:215], -v[22:23]
	v_fma_f64 v[34:35], v[84:85], v[200:201], v[2:3]
	v_fma_f64 v[36:37], v[88:89], v[222:223], -v[4:5]
	v_fma_f64 v[38:39], v[84:85], v[202:203], -v[6:7]
	;; [unrolled: 1-line block ×3, first 2 shown]
	v_fma_f64 v[32:33], v[88:89], v[220:221], v[0:1]
	v_fma_f64 v[2:3], v[80:81], v[196:197], v[24:25]
	;; [unrolled: 1-line block ×4, first 2 shown]
	v_fma_f64 v[6:7], v[80:81], v[198:199], -v[28:29]
	v_add_f64_e32 v[66:67], v[190:191], v[10:11]
	v_add_f64_e32 v[72:73], v[192:193], v[12:13]
	;; [unrolled: 1-line block ×6, first 2 shown]
	v_add_f64_e64 v[84:85], v[18:19], -v[20:21]
	v_add_f64_e64 v[86:87], v[12:13], -v[16:17]
	v_add_f64_e32 v[24:25], v[36:37], v[38:39]
	v_add_f64_e64 v[62:63], v[36:37], -v[38:39]
	v_add_f64_e32 v[36:37], v[186:187], v[36:37]
	;; [unrolled: 2-line block ×3, first 2 shown]
	v_add_f64_e32 v[60:61], v[184:185], v[32:33]
	v_add_f64_e64 v[32:33], v[32:33], -v[34:35]
	v_add_f64_e32 v[64:65], v[188:189], v[8:9]
	v_add_f64_e32 v[26:27], v[8:9], v[40:41]
	v_add_f64_e64 v[82:83], v[8:9], -v[40:41]
	v_add_f64_e32 v[56:57], v[2:3], v[0:1]
	v_add_f64_e32 v[58:59], v[6:7], v[4:5]
	v_add_f64_e64 v[88:89], v[6:7], -v[4:5]
	v_add_f64_e64 v[140:141], v[2:3], -v[0:1]
	v_add_f64_e32 v[14:15], v[66:67], v[14:15]
	v_add_f64_e32 v[18:19], v[72:73], v[16:17]
	scratch_load_b32 v16, off, off offset:252 th:TH_LOAD_LU ; 4-byte Folded Reload
	v_fma_f64 v[28:29], v[28:29], -0.5, v[190:191]
	v_add_f64_e32 v[20:21], v[74:75], v[20:21]
	v_fma_f64 v[30:31], v[30:31], -0.5, v[192:193]
	v_fma_f64 v[42:43], v[42:43], -0.5, v[194:195]
	;; [unrolled: 1-line block ×3, first 2 shown]
	v_add_f64_e32 v[10:11], v[36:37], v[38:39]
	v_fma_f64 v[76:77], v[22:23], -0.5, v[184:185]
	v_add_f64_e32 v[8:9], v[60:61], v[34:35]
	v_add_f64_e32 v[12:13], v[64:65], v[40:41]
	v_fma_f64 v[26:27], v[26:27], -0.5, v[188:189]
	v_fma_f64 v[90:91], v[56:57], -0.5, v[180:181]
	;; [unrolled: 1-line block ×3, first 2 shown]
	s_wait_alu 0xfffe
	v_fma_f64 v[74:75], v[82:83], s[10:11], v[28:29]
	v_fma_f64 v[24:25], v[32:33], s[10:11], v[78:79]
	v_fma_f64 v[66:67], v[32:33], s[8:9], v[78:79]
	v_fma_f64 v[78:79], v[82:83], s[8:9], v[28:29]
	v_fma_f64 v[82:83], v[86:87], s[10:11], v[42:43]
	v_fma_f64 v[86:87], v[86:87], s[8:9], v[42:43]
	v_fma_f64 v[22:23], v[62:63], s[8:9], v[76:77]
	v_fma_f64 v[64:65], v[62:63], s[10:11], v[76:77]
	s_wait_loadcnt 0x0
	ds_store_b128 v16, v[8:11]
	ds_store_b128 v16, v[22:25] offset:176
	ds_store_b128 v16, v[64:67] offset:352
	scratch_load_b32 v8, off, off offset:248 th:TH_LOAD_LU ; 4-byte Folded Reload
	v_fma_f64 v[72:73], v[80:81], s[8:9], v[26:27]
	v_fma_f64 v[76:77], v[80:81], s[10:11], v[26:27]
	;; [unrolled: 1-line block ×8, first 2 shown]
	s_wait_loadcnt 0x0
	ds_store_b128 v8, v[12:15]
	ds_store_b128 v8, v[72:75] offset:176
	ds_store_b128 v8, v[76:79] offset:352
	scratch_load_b32 v8, off, off offset:244 th:TH_LOAD_LU ; 4-byte Folded Reload
	s_wait_loadcnt 0x0
	ds_store_b128 v8, v[18:21]
	ds_store_b128 v8, v[80:83] offset:176
	ds_store_b128 v8, v[84:87] offset:352
	s_and_saveexec_b32 s1, s0
	s_cbranch_execz .LBB0_13
; %bb.12:
	v_add_f64_e32 v[6:7], v[182:183], v[6:7]
	v_add_f64_e32 v[8:9], v[180:181], v[2:3]
	s_delay_alu instid0(VALU_DEP_2)
	v_add_f64_e32 v[2:3], v[6:7], v[4:5]
	s_clause 0x1
	scratch_load_b32 v4, off, off offset:236 th:TH_LOAD_LU
	scratch_load_b32 v5, off, off offset:240 th:TH_LOAD_LU
	v_add_f64_e32 v[0:1], v[8:9], v[0:1]
	s_wait_loadcnt 0x0
	v_mad_u16 v4, v4, 33, v5
	s_delay_alu instid0(VALU_DEP_1) | instskip(NEXT) | instid1(VALU_DEP_1)
	v_and_b32_e32 v4, 0xffff, v4
	v_lshlrev_b32_e32 v4, 4, v4
	ds_store_b128 v4, v[0:3]
	ds_store_b128 v4, v[56:59] offset:176
	ds_store_b128 v4, v[60:63] offset:352
.LBB0_13:
	s_wait_alu 0xfffe
	s_or_b32 exec_lo, exec_lo, s1
	global_wb scope:SCOPE_SE
	s_wait_dscnt 0x0
	s_barrier_signal -1
	s_barrier_wait -1
	global_inv scope:SCOPE_SE
	ds_load_b128 v[72:75], v255
	ds_load_b128 v[64:67], v255 offset:2640
	ds_load_b128 v[176:179], v255 offset:5808
	;; [unrolled: 1-line block ×9, first 2 shown]
	s_and_saveexec_b32 s0, vcc_lo
	s_cbranch_execz .LBB0_15
; %bb.14:
	ds_load_b128 v[56:59], v255 offset:5280
	ds_load_b128 v[60:63], v255 offset:11088
	;; [unrolled: 1-line block ×3, first 2 shown]
	s_wait_dscnt 0x0
	scratch_store_b128 off, v[0:3], off offset:16 ; 16-byte Folded Spill
	ds_load_b128 v[0:3], v255 offset:22704
	s_wait_dscnt 0x0
	scratch_store_b128 off, v[0:3], off offset:32 ; 16-byte Folded Spill
	ds_load_b128 v[0:3], v255 offset:28512
	s_wait_dscnt 0x0
	scratch_store_b128 off, v[0:3], off     ; 16-byte Folded Spill
.LBB0_15:
	s_wait_alu 0xfffe
	s_or_b32 exec_lo, exec_lo, s0
	s_wait_dscnt 0x7
	v_mul_f64_e32 v[0:1], v[98:99], v[178:179]
	s_wait_dscnt 0x5
	v_mul_f64_e32 v[2:3], v[94:95], v[182:183]
	;; [unrolled: 2-line block ×3, first 2 shown]
	v_mul_f64_e32 v[6:7], v[98:99], v[176:177]
	s_wait_dscnt 0x1
	v_mul_f64_e32 v[8:9], v[106:107], v[190:191]
	v_mul_f64_e32 v[10:11], v[94:95], v[180:181]
	v_mul_f64_e32 v[12:13], v[102:103], v[184:185]
	v_mul_f64_e32 v[14:15], v[106:107], v[188:189]
	v_mul_f64_e32 v[16:17], v[114:115], v[78:79]
	v_mul_f64_e32 v[18:19], v[110:111], v[82:83]
	v_mul_f64_e32 v[20:21], v[118:119], v[86:87]
	s_wait_dscnt 0x0
	v_mul_f64_e32 v[24:25], v[122:123], v[90:91]
	v_mul_f64_e32 v[22:23], v[114:115], v[76:77]
	;; [unrolled: 1-line block ×5, first 2 shown]
	s_mov_b32 s0, 0x134454ff
	s_mov_b32 s1, 0xbfee6f0e
	;; [unrolled: 1-line block ×3, first 2 shown]
	s_wait_alu 0xfffe
	s_mov_b32 s8, s0
	s_mov_b32 s12, 0x4755a5e
	;; [unrolled: 1-line block ×4, first 2 shown]
	s_wait_alu 0xfffe
	s_mov_b32 s10, s12
	s_mov_b32 s14, 0x372fe950
	;; [unrolled: 1-line block ×3, first 2 shown]
	global_wb scope:SCOPE_SE
	s_wait_storecnt 0x0
	s_barrier_signal -1
	s_barrier_wait -1
	global_inv scope:SCOPE_SE
	v_fma_f64 v[0:1], v[96:97], v[176:177], v[0:1]
	v_fma_f64 v[2:3], v[92:93], v[180:181], v[2:3]
	;; [unrolled: 1-line block ×3, first 2 shown]
	v_fma_f64 v[6:7], v[96:97], v[178:179], -v[6:7]
	v_fma_f64 v[8:9], v[104:105], v[188:189], v[8:9]
	v_fma_f64 v[10:11], v[92:93], v[182:183], -v[10:11]
	v_fma_f64 v[12:13], v[100:101], v[186:187], -v[12:13]
	;; [unrolled: 1-line block ×3, first 2 shown]
	v_fma_f64 v[16:17], v[112:113], v[76:77], v[16:17]
	v_fma_f64 v[18:19], v[108:109], v[80:81], v[18:19]
	;; [unrolled: 1-line block ×4, first 2 shown]
	v_fma_f64 v[22:23], v[112:113], v[78:79], -v[22:23]
	v_fma_f64 v[26:27], v[108:109], v[82:83], -v[26:27]
	v_fma_f64 v[28:29], v[116:117], v[86:87], -v[28:29]
	v_fma_f64 v[30:31], v[120:121], v[90:91], -v[30:31]
	v_add_f64_e32 v[80:81], v[72:73], v[0:1]
	v_add_f64_e32 v[32:33], v[2:3], v[4:5]
	;; [unrolled: 1-line block ×4, first 2 shown]
	v_add_f64_e64 v[92:93], v[0:1], -v[8:9]
	v_add_f64_e32 v[36:37], v[10:11], v[12:13]
	v_add_f64_e32 v[38:39], v[6:7], v[14:15]
	v_add_f64_e64 v[84:85], v[10:11], -v[12:13]
	v_add_f64_e32 v[88:89], v[64:65], v[16:17]
	v_add_f64_e32 v[40:41], v[18:19], v[20:21]
	;; [unrolled: 1-line block ×4, first 2 shown]
	v_add_f64_e64 v[82:83], v[6:7], -v[14:15]
	v_add_f64_e32 v[76:77], v[26:27], v[28:29]
	v_add_f64_e32 v[78:79], v[22:23], v[30:31]
	v_add_f64_e64 v[94:95], v[22:23], -v[30:31]
	v_add_f64_e64 v[96:97], v[16:17], -v[24:25]
	;; [unrolled: 1-line block ×16, first 2 shown]
	v_fma_f64 v[32:33], v[32:33], -0.5, v[72:73]
	v_add_f64_e32 v[10:11], v[86:87], v[10:11]
	v_fma_f64 v[34:35], v[34:35], -0.5, v[72:73]
	v_add_f64_e64 v[72:73], v[2:3], -v[4:5]
	v_fma_f64 v[36:37], v[36:37], -0.5, v[74:75]
	v_fma_f64 v[38:39], v[38:39], -0.5, v[74:75]
	v_add_f64_e64 v[74:75], v[26:27], -v[28:29]
	v_fma_f64 v[40:41], v[40:41], -0.5, v[64:65]
	v_fma_f64 v[42:43], v[42:43], -0.5, v[64:65]
	v_add_f64_e64 v[64:65], v[18:19], -v[20:21]
	v_add_f64_e32 v[18:19], v[88:89], v[18:19]
	v_fma_f64 v[76:77], v[76:77], -0.5, v[66:67]
	v_fma_f64 v[66:67], v[78:79], -0.5, v[66:67]
	v_add_f64_e64 v[78:79], v[0:1], -v[2:3]
	v_add_f64_e64 v[0:1], v[2:3], -v[0:1]
	v_add_f64_e32 v[2:3], v[80:81], v[2:3]
	v_add_f64_e32 v[26:27], v[90:91], v[26:27]
	;; [unrolled: 1-line block ×3, first 2 shown]
	v_fma_f64 v[80:81], v[82:83], s[0:1], v[32:33]
	v_fma_f64 v[32:33], v[82:83], s[8:9], v[32:33]
	;; [unrolled: 1-line block ×14, first 2 shown]
	v_add_f64_e32 v[78:79], v[78:79], v[98:99]
	v_add_f64_e32 v[98:99], v[0:1], v[100:101]
	;; [unrolled: 1-line block ×10, first 2 shown]
	v_fma_f64 v[142:143], v[64:65], s[0:1], v[66:67]
	v_fma_f64 v[66:67], v[64:65], s[8:9], v[66:67]
	v_add_f64_e32 v[106:107], v[114:115], v[116:117]
	v_fma_f64 v[10:11], v[84:85], s[12:13], v[80:81]
	s_wait_alu 0xfffe
	v_fma_f64 v[12:13], v[84:85], s[10:11], v[32:33]
	v_fma_f64 v[18:19], v[82:83], s[12:13], v[86:87]
	;; [unrolled: 1-line block ×13, first 2 shown]
	v_add_f64_e32 v[0:1], v[0:1], v[8:9]
	v_add_f64_e32 v[4:5], v[4:5], v[24:25]
	;; [unrolled: 1-line block ×4, first 2 shown]
	v_fma_f64 v[82:83], v[96:97], s[10:11], v[142:143]
	v_fma_f64 v[84:85], v[96:97], s[12:13], v[66:67]
	;; [unrolled: 1-line block ×14, first 2 shown]
	scratch_load_b32 v16, off, off offset:264 th:TH_LOAD_LU ; 4-byte Folded Reload
	v_fma_f64 v[66:67], v[106:107], s[14:15], v[74:75]
	v_fma_f64 v[74:75], v[106:107], s[14:15], v[86:87]
	s_wait_loadcnt 0x0
	ds_store_b128 v16, v[0:3]
	ds_store_b128 v16, v[8:11] offset:528
	ds_store_b128 v16, v[18:21] offset:1056
	;; [unrolled: 1-line block ×4, first 2 shown]
	scratch_load_b32 v0, off, off offset:260 th:TH_LOAD_LU ; 4-byte Folded Reload
	v_fma_f64 v[78:79], v[108:109], s[14:15], v[82:83]
	v_fma_f64 v[82:83], v[108:109], s[14:15], v[84:85]
	s_wait_loadcnt 0x0
	ds_store_b128 v0, v[4:7]
	ds_store_b128 v0, v[64:67] offset:528
	ds_store_b128 v0, v[76:79] offset:1056
	;; [unrolled: 1-line block ×4, first 2 shown]
	s_and_saveexec_b32 s16, vcc_lo
	s_cbranch_execz .LBB0_17
; %bb.16:
	s_clause 0x2
	scratch_load_b128 v[20:23], off, off offset:16 th:TH_LOAD_LU
	scratch_load_b128 v[16:19], off, off th:TH_LOAD_LU
	scratch_load_b128 v[24:27], off, off offset:32 th:TH_LOAD_LU
	v_mul_f64_e32 v[2:3], v[50:51], v[60:61]
	v_mul_f64_e32 v[12:13], v[50:51], v[62:63]
	s_delay_alu instid0(VALU_DEP_2) | instskip(NEXT) | instid1(VALU_DEP_2)
	v_fma_f64 v[2:3], v[48:49], v[62:63], -v[2:3]
	v_fma_f64 v[12:13], v[48:49], v[60:61], v[12:13]
	s_delay_alu instid0(VALU_DEP_2) | instskip(NEXT) | instid1(VALU_DEP_2)
	v_add_f64_e32 v[28:29], v[58:59], v[2:3]
	v_add_f64_e32 v[30:31], v[56:57], v[12:13]
	s_wait_loadcnt 0x2
	v_mul_f64_e32 v[0:1], v[46:47], v[20:21]
	s_wait_loadcnt 0x1
	v_mul_f64_e32 v[4:5], v[70:71], v[16:17]
	;; [unrolled: 2-line block ×3, first 2 shown]
	v_mul_f64_e32 v[8:9], v[46:47], v[22:23]
	v_mul_f64_e32 v[10:11], v[54:55], v[26:27]
	v_mul_f64_e32 v[14:15], v[70:71], v[18:19]
	v_fma_f64 v[0:1], v[44:45], v[22:23], -v[0:1]
	v_fma_f64 v[4:5], v[68:69], v[18:19], -v[4:5]
	;; [unrolled: 1-line block ×3, first 2 shown]
	v_fma_f64 v[8:9], v[44:45], v[20:21], v[8:9]
	v_fma_f64 v[10:11], v[52:53], v[24:25], v[10:11]
	;; [unrolled: 1-line block ×3, first 2 shown]
	v_add_f64_e64 v[36:37], v[0:1], -v[2:3]
	v_add_f64_e32 v[16:17], v[2:3], v[4:5]
	v_add_f64_e32 v[18:19], v[0:1], v[6:7]
	v_add_f64_e64 v[32:33], v[2:3], -v[4:5]
	v_add_f64_e32 v[20:21], v[8:9], v[10:11]
	v_add_f64_e64 v[24:25], v[8:9], -v[10:11]
	v_add_f64_e64 v[26:27], v[12:13], -v[14:15]
	v_add_f64_e32 v[22:23], v[12:13], v[14:15]
	v_add_f64_e64 v[34:35], v[0:1], -v[6:7]
	v_add_f64_e64 v[38:39], v[6:7], -v[4:5]
	v_add_f64_e64 v[2:3], v[2:3], -v[0:1]
	v_add_f64_e64 v[40:41], v[4:5], -v[6:7]
	v_add_f64_e64 v[42:43], v[8:9], -v[12:13]
	v_add_f64_e64 v[12:13], v[12:13], -v[8:9]
	v_add_f64_e64 v[46:47], v[14:15], -v[10:11]
	v_add_f64_e32 v[0:1], v[28:29], v[0:1]
	v_add_f64_e32 v[8:9], v[30:31], v[8:9]
	v_add_f64_e64 v[44:45], v[10:11], -v[14:15]
	v_fma_f64 v[16:17], v[16:17], -0.5, v[58:59]
	v_fma_f64 v[18:19], v[18:19], -0.5, v[58:59]
	;; [unrolled: 1-line block ×4, first 2 shown]
	v_add_f64_e32 v[36:37], v[36:37], v[38:39]
	v_add_f64_e32 v[38:39], v[2:3], v[40:41]
	v_add_f64_e32 v[12:13], v[12:13], v[46:47]
	v_add_f64_e32 v[0:1], v[0:1], v[6:7]
	v_add_f64_e32 v[6:7], v[8:9], v[10:11]
	v_add_f64_e32 v[40:41], v[42:43], v[44:45]
	v_fma_f64 v[28:29], v[24:25], s[8:9], v[16:17]
	v_fma_f64 v[16:17], v[24:25], s[0:1], v[16:17]
	;; [unrolled: 1-line block ×8, first 2 shown]
	v_add_f64_e32 v[2:3], v[0:1], v[4:5]
	v_add_f64_e32 v[0:1], v[6:7], v[14:15]
	v_fma_f64 v[8:9], v[26:27], s[12:13], v[28:29]
	v_fma_f64 v[10:11], v[26:27], s[10:11], v[16:17]
	;; [unrolled: 1-line block ×14, first 2 shown]
	scratch_load_b32 v20, off, off offset:256 th:TH_LOAD_LU ; 4-byte Folded Reload
	v_fma_f64 v[8:9], v[40:41], s[14:15], v[26:27]
	v_fma_f64 v[4:5], v[40:41], s[14:15], v[22:23]
	s_wait_loadcnt 0x0
	v_lshlrev_b32_e32 v20, 4, v20
	ds_store_b128 v20, v[0:3] offset:26400
	ds_store_b128 v20, v[16:19] offset:26928
	;; [unrolled: 1-line block ×5, first 2 shown]
.LBB0_17:
	s_wait_alu 0xfffe
	s_or_b32 exec_lo, exec_lo, s16
	global_wb scope:SCOPE_SE
	s_wait_dscnt 0x0
	s_barrier_signal -1
	s_barrier_wait -1
	global_inv scope:SCOPE_SE
	ds_load_b128 v[0:3], v255 offset:2640
	ds_load_b128 v[4:7], v255 offset:26400
	;; [unrolled: 1-line block ×10, first 2 shown]
	ds_load_b128 v[44:47], v255
	s_mov_b32 s0, 0xf8bb580b
	s_mov_b32 s8, 0x8764f0ba
	;; [unrolled: 1-line block ×13, first 2 shown]
	s_wait_dscnt 0x9
	v_mul_f64_e32 v[32:33], v[174:175], v[4:5]
	s_wait_dscnt 0x8
	v_mul_f64_e32 v[34:35], v[134:135], v[8:9]
	v_mul_f64_e32 v[28:29], v[138:139], v[2:3]
	v_mul_f64_e32 v[30:31], v[138:139], v[0:1]
	s_wait_dscnt 0x7
	v_mul_f64_e32 v[36:37], v[170:171], v[12:13]
	v_mul_f64_e32 v[38:39], v[134:135], v[10:11]
	;; [unrolled: 4-line block ×3, first 2 shown]
	s_wait_dscnt 0x3
	v_mul_f64_e32 v[80:81], v[158:159], v[54:55]
	s_wait_dscnt 0x1
	v_mul_f64_e32 v[84:85], v[154:155], v[62:63]
	v_mul_f64_e32 v[68:69], v[130:131], v[26:27]
	;; [unrolled: 1-line block ×7, first 2 shown]
	s_mov_b32 s35, 0xbfeeb42a
	v_mul_f64_e32 v[78:79], v[158:159], v[56:57]
	s_mov_b32 s24, 0xbb3a28a1
	s_mov_b32 s30, 0xfd768dbf
	s_mov_b32 s25, 0xbfe82f19
	s_mov_b32 s31, 0xbfd207e7
	s_mov_b32 s11, 0x3fe14ced
	s_mov_b32 s17, 0x3fed1bb4
	s_mov_b32 s23, 0x3fefac9e
	s_mov_b32 s29, 0x3fe82f19
	s_mov_b32 s37, 0x3fd207e7
	s_wait_alu 0xfffe
	s_mov_b32 s10, s0
	s_mov_b32 s16, s12
	;; [unrolled: 1-line block ×5, first 2 shown]
	v_fma_f64 v[48:49], v[172:173], v[6:7], -v[32:33]
	v_fma_f64 v[6:7], v[132:133], v[10:11], -v[34:35]
	v_fma_f64 v[28:29], v[136:137], v[0:1], v[28:29]
	v_fma_f64 v[30:31], v[136:137], v[2:3], -v[30:31]
	v_mul_f64_e32 v[0:1], v[126:127], v[16:17]
	v_fma_f64 v[50:51], v[168:169], v[14:15], -v[36:37]
	v_fma_f64 v[8:9], v[132:133], v[8:9], v[38:39]
	v_mul_f64_e32 v[2:3], v[166:167], v[20:21]
	v_fma_f64 v[52:53], v[172:173], v[4:5], v[40:41]
	v_fma_f64 v[16:17], v[124:125], v[16:17], v[42:43]
	v_fma_f64 v[32:33], v[156:157], v[56:57], -v[80:81]
	v_fma_f64 v[36:37], v[152:153], v[64:65], -v[84:85]
	v_fma_f64 v[4:5], v[164:165], v[20:21], v[70:71]
	v_fma_f64 v[20:21], v[128:129], v[26:27], -v[72:73]
	v_fma_f64 v[34:35], v[152:153], v[62:63], v[82:83]
	v_fma_f64 v[26:27], v[156:157], v[54:55], v[78:79]
	s_wait_dscnt 0x0
	v_add_f64_e32 v[10:11], v[44:45], v[28:29]
	v_add_f64_e32 v[14:15], v[46:47], v[30:31]
	v_fma_f64 v[18:19], v[124:125], v[18:19], -v[0:1]
	v_add_f64_e64 v[38:39], v[30:31], -v[48:49]
	v_add_f64_e32 v[30:31], v[30:31], v[48:49]
	v_add_f64_e64 v[40:41], v[6:7], -v[50:51]
	v_add_f64_e32 v[42:43], v[6:7], v[50:51]
	v_fma_f64 v[2:3], v[164:165], v[22:23], -v[2:3]
	v_fma_f64 v[0:1], v[168:169], v[12:13], v[66:67]
	v_fma_f64 v[12:13], v[128:129], v[24:25], v[68:69]
	;; [unrolled: 1-line block ×3, first 2 shown]
	v_fma_f64 v[24:25], v[160:161], v[60:61], -v[76:77]
	v_add_f64_e32 v[56:57], v[28:29], v[52:53]
	v_add_f64_e64 v[28:29], v[28:29], -v[52:53]
	v_add_f64_e32 v[74:75], v[32:33], v[36:37]
	v_add_f64_e32 v[60:61], v[16:17], v[4:5]
	v_add_f64_e64 v[62:63], v[16:17], -v[4:5]
	v_add_f64_e32 v[72:73], v[26:27], v[34:35]
	v_add_f64_e64 v[76:77], v[26:27], -v[34:35]
	v_add_f64_e64 v[78:79], v[32:33], -v[36:37]
	v_add_f64_e32 v[10:11], v[10:11], v[8:9]
	v_add_f64_e32 v[6:7], v[14:15], v[6:7]
	v_mul_f64_e32 v[80:81], s[0:1], v[38:39]
	v_mul_f64_e32 v[82:83], s[8:9], v[30:31]
	;; [unrolled: 1-line block ×10, first 2 shown]
	v_add_f64_e64 v[14:15], v[18:19], -v[2:3]
	v_add_f64_e32 v[54:55], v[18:19], v[2:3]
	v_add_f64_e32 v[58:59], v[8:9], v[0:1]
	v_add_f64_e64 v[8:9], v[8:9], -v[0:1]
	v_add_f64_e32 v[64:65], v[12:13], v[22:23]
	v_add_f64_e32 v[66:67], v[20:21], v[24:25]
	v_add_f64_e64 v[68:69], v[20:21], -v[24:25]
	v_add_f64_e64 v[70:71], v[12:13], -v[22:23]
	v_mul_f64_e32 v[96:97], s[12:13], v[40:41]
	v_mul_f64_e32 v[98:99], s[14:15], v[42:43]
	;; [unrolled: 1-line block ×9, first 2 shown]
	s_wait_alu 0xfffe
	v_mul_f64_e32 v[104:105], s[22:23], v[40:41]
	v_mul_f64_e32 v[144:145], s[10:11], v[78:79]
	v_mul_f64_e32 v[140:141], s[30:31], v[78:79]
	v_mul_f64_e32 v[148:149], s[24:25], v[78:79]
	v_mul_f64_e32 v[152:153], s[16:17], v[78:79]
	v_mul_f64_e32 v[78:79], s[18:19], v[78:79]
	v_add_f64_e32 v[10:11], v[10:11], v[16:17]
	v_add_f64_e32 v[6:7], v[6:7], v[18:19]
	v_mul_f64_e32 v[16:17], s[26:27], v[42:43]
	v_mul_f64_e32 v[42:43], s[8:9], v[42:43]
	;; [unrolled: 1-line block ×3, first 2 shown]
	v_fma_f64 v[156:157], v[56:57], s[14:15], v[84:85]
	v_fma_f64 v[158:159], v[28:29], s[16:17], v[86:87]
	;; [unrolled: 1-line block ×8, first 2 shown]
	v_mul_f64_e32 v[40:41], s[10:11], v[40:41]
	v_fma_f64 v[160:161], v[56:57], s[20:21], v[88:89]
	v_fma_f64 v[168:169], v[56:57], s[34:35], v[38:39]
	v_mul_f64_e32 v[108:109], s[18:19], v[14:15]
	v_mul_f64_e32 v[110:111], s[20:21], v[54:55]
	;; [unrolled: 1-line block ×5, first 2 shown]
	v_fma_f64 v[84:85], v[56:57], s[14:15], -v[84:85]
	v_fma_f64 v[88:89], v[56:57], s[20:21], -v[88:89]
	v_fma_f64 v[164:165], v[56:57], s[26:27], v[92:93]
	v_fma_f64 v[92:93], v[56:57], s[26:27], -v[92:93]
	v_fma_f64 v[38:39], v[56:57], s[34:35], -v[38:39]
	v_fma_f64 v[172:173], v[58:59], s[26:27], v[100:101]
	v_fma_f64 v[178:179], v[8:9], s[30:31], v[102:103]
	;; [unrolled: 1-line block ×4, first 2 shown]
	v_mul_f64_e32 v[116:117], s[16:17], v[14:15]
	v_mul_f64_e32 v[120:121], s[0:1], v[14:15]
	;; [unrolled: 1-line block ×8, first 2 shown]
	v_add_f64_e32 v[10:11], v[10:11], v[12:13]
	v_add_f64_e32 v[6:7], v[6:7], v[20:21]
	v_mul_f64_e32 v[12:13], s[20:21], v[74:75]
	v_fma_f64 v[20:21], v[56:57], s[8:9], v[80:81]
	v_fma_f64 v[74:75], v[28:29], s[10:11], v[82:83]
	v_fma_f64 v[80:81], v[56:57], s[8:9], -v[80:81]
	v_fma_f64 v[82:83], v[28:29], s[0:1], v[82:83]
	v_fma_f64 v[28:29], v[28:29], s[30:31], v[30:31]
	;; [unrolled: 1-line block ×4, first 2 shown]
	v_fma_f64 v[96:97], v[58:59], s[14:15], -v[96:97]
	v_fma_f64 v[98:99], v[8:9], s[12:13], v[98:99]
	v_fma_f64 v[174:175], v[8:9], s[28:29], v[16:17]
	;; [unrolled: 1-line block ×3, first 2 shown]
	v_add_f64_e32 v[156:157], v[44:45], v[156:157]
	v_add_f64_e32 v[158:159], v[46:47], v[158:159]
	;; [unrolled: 1-line block ×3, first 2 shown]
	v_fma_f64 v[176:177], v[58:59], s[34:35], v[18:19]
	v_add_f64_e32 v[160:161], v[44:45], v[160:161]
	v_add_f64_e32 v[168:169], v[44:45], v[168:169]
	v_mul_f64_e32 v[130:131], s[20:21], v[66:67]
	v_mul_f64_e32 v[134:135], s[8:9], v[66:67]
	v_fma_f64 v[100:101], v[58:59], s[26:27], -v[100:101]
	v_fma_f64 v[18:19], v[58:59], s[34:35], -v[18:19]
	v_fma_f64 v[180:181], v[58:59], s[20:21], v[104:105]
	v_fma_f64 v[104:105], v[58:59], s[20:21], -v[104:105]
	v_fma_f64 v[184:185], v[60:61], s[34:35], v[112:113]
	v_fma_f64 v[186:187], v[62:63], s[30:31], v[114:115]
	;; [unrolled: 1-line block ×4, first 2 shown]
	v_add_f64_e32 v[84:85], v[44:45], v[84:85]
	v_add_f64_e32 v[162:163], v[46:47], v[162:163]
	;; [unrolled: 1-line block ×6, first 2 shown]
	v_mul_f64_e32 v[132:133], s[0:1], v[68:69]
	v_mul_f64_e32 v[136:137], s[30:31], v[68:69]
	v_add_f64_e32 v[10:11], v[10:11], v[26:27]
	v_add_f64_e32 v[6:7], v[6:7], v[32:33]
	v_fma_f64 v[26:27], v[8:9], s[22:23], v[106:107]
	v_fma_f64 v[106:107], v[8:9], s[0:1], v[42:43]
	;; [unrolled: 1-line block ×3, first 2 shown]
	v_add_f64_e32 v[20:21], v[44:45], v[20:21]
	v_add_f64_e32 v[80:81], v[44:45], v[80:81]
	;; [unrolled: 1-line block ×4, first 2 shown]
	v_fma_f64 v[32:33], v[58:59], s[8:9], v[40:41]
	v_fma_f64 v[40:41], v[58:59], s[8:9], -v[40:41]
	v_fma_f64 v[42:43], v[60:61], s[20:21], v[108:109]
	v_fma_f64 v[58:59], v[62:63], s[22:23], v[110:111]
	v_fma_f64 v[108:109], v[60:61], s[20:21], -v[108:109]
	v_fma_f64 v[110:111], v[62:63], s[18:19], v[110:111]
	v_add_f64_e32 v[44:45], v[46:47], v[94:95]
	v_mul_f64_e32 v[68:69], s[16:17], v[68:69]
	v_fma_f64 v[188:189], v[60:61], s[14:15], v[116:117]
	v_add_f64_e32 v[170:171], v[46:47], v[170:171]
	v_add_f64_e32 v[86:87], v[46:47], v[86:87]
	v_mul_f64_e32 v[138:139], s[34:35], v[66:67]
	v_mul_f64_e32 v[66:67], s[14:15], v[66:67]
	v_fma_f64 v[112:113], v[60:61], s[34:35], -v[112:113]
	v_fma_f64 v[114:115], v[62:63], s[36:37], v[114:115]
	v_fma_f64 v[116:117], v[60:61], s[14:15], -v[116:117]
	v_add_f64_e32 v[166:167], v[46:47], v[166:167]
	v_fma_f64 v[94:95], v[62:63], s[0:1], v[122:123]
	v_fma_f64 v[192:193], v[64:65], s[20:21], v[128:129]
	;; [unrolled: 1-line block ×3, first 2 shown]
	v_fma_f64 v[128:129], v[64:65], s[20:21], -v[128:129]
	v_add_f64_e32 v[84:85], v[100:101], v[84:85]
	v_add_f64_e32 v[100:101], v[178:179], v[162:163]
	;; [unrolled: 1-line block ×3, first 2 shown]
	v_fma_f64 v[130:131], v[70:71], s[22:23], v[130:131]
	v_add_f64_e32 v[92:93], v[104:105], v[92:93]
	v_add_f64_e32 v[88:89], v[180:181], v[164:165]
	v_add_f64_e32 v[10:11], v[10:11], v[34:35]
	v_add_f64_e32 v[6:7], v[6:7], v[36:37]
	v_add_f64_e32 v[34:35], v[46:47], v[74:75]
	v_fma_f64 v[36:37], v[60:61], s[8:9], v[120:121]
	v_fma_f64 v[74:75], v[60:61], s[8:9], -v[120:121]
	v_add_f64_e32 v[20:21], v[30:31], v[20:21]
	v_add_f64_e32 v[30:31], v[96:97], v[80:81]
	;; [unrolled: 1-line block ×7, first 2 shown]
	v_fma_f64 v[120:121], v[60:61], s[26:27], v[14:15]
	v_add_f64_e32 v[98:99], v[176:177], v[160:161]
	v_add_f64_e32 v[32:33], v[32:33], v[168:169]
	v_fma_f64 v[46:47], v[62:63], s[10:11], v[122:123]
	v_fma_f64 v[122:123], v[62:63], s[28:29], v[54:55]
	v_fma_f64 v[14:15], v[60:61], s[26:27], -v[14:15]
	v_fma_f64 v[54:55], v[62:63], s[24:25], v[54:55]
	v_fma_f64 v[60:61], v[64:65], s[26:27], v[124:125]
	v_fma_f64 v[62:63], v[70:71], s[28:29], v[126:127]
	v_fma_f64 v[124:125], v[64:65], s[26:27], -v[124:125]
	v_fma_f64 v[126:127], v[70:71], s[24:25], v[126:127]
	v_add_f64_e32 v[38:39], v[40:41], v[38:39]
	v_add_f64_e32 v[26:27], v[26:27], v[44:45]
	v_fma_f64 v[44:45], v[70:71], s[0:1], v[134:135]
	v_add_f64_e32 v[104:105], v[106:107], v[170:171]
	v_add_f64_e32 v[16:17], v[16:17], v[86:87]
	v_fma_f64 v[106:107], v[64:65], s[14:15], v[68:69]
	v_fma_f64 v[40:41], v[64:65], s[8:9], -v[132:133]
	v_fma_f64 v[86:87], v[70:71], s[36:37], v[138:139]
	v_fma_f64 v[90:91], v[64:65], s[34:35], -v[136:137]
	v_fma_f64 v[102:103], v[70:71], s[30:31], v[138:139]
	v_add_f64_e32 v[84:85], v[112:113], v[84:85]
	v_add_f64_e32 v[18:19], v[116:117], v[18:19]
	v_fma_f64 v[112:113], v[76:77], s[16:17], v[154:155]
	v_fma_f64 v[116:117], v[76:77], s[22:23], v[12:13]
	v_add_f64_e32 v[156:157], v[182:183], v[166:167]
	v_add_f64_e32 v[10:11], v[10:11], v[22:23]
	;; [unrolled: 1-line block ×4, first 2 shown]
	v_fma_f64 v[24:25], v[64:65], s[8:9], v[132:133]
	v_fma_f64 v[34:35], v[70:71], s[10:11], v[134:135]
	v_add_f64_e32 v[20:21], v[42:43], v[20:21]
	v_add_f64_e32 v[30:31], v[108:109], v[30:31]
	;; [unrolled: 1-line block ×5, first 2 shown]
	v_fma_f64 v[56:57], v[64:65], s[34:35], v[136:137]
	v_add_f64_e32 v[28:29], v[118:119], v[28:29]
	v_fma_f64 v[132:133], v[70:71], s[12:13], v[66:67]
	v_add_f64_e32 v[96:97], v[188:189], v[98:99]
	v_add_f64_e32 v[32:33], v[120:121], v[32:33]
	v_fma_f64 v[64:65], v[64:65], s[14:15], -v[68:69]
	v_fma_f64 v[66:67], v[70:71], s[16:17], v[66:67]
	v_fma_f64 v[70:71], v[76:77], s[36:37], v[142:143]
	;; [unrolled: 1-line block ×3, first 2 shown]
	v_add_f64_e32 v[98:99], v[190:191], v[100:101]
	v_add_f64_e32 v[74:75], v[74:75], v[92:93]
	;; [unrolled: 1-line block ×3, first 2 shown]
	v_fma_f64 v[92:93], v[76:77], s[10:11], v[146:147]
	v_add_f64_e32 v[14:15], v[14:15], v[38:39]
	v_fma_f64 v[100:101], v[76:77], s[24:25], v[150:151]
	v_fma_f64 v[108:109], v[76:77], s[12:13], v[154:155]
	;; [unrolled: 1-line block ×3, first 2 shown]
	v_add_f64_e32 v[16:17], v[114:115], v[16:17]
	v_fma_f64 v[114:115], v[72:73], s[20:21], v[78:79]
	v_add_f64_e32 v[36:37], v[36:37], v[88:89]
	v_add_f64_e32 v[88:89], v[122:123], v[104:105]
	v_add_f64_e32 v[26:27], v[94:95], v[26:27]
	v_fma_f64 v[104:105], v[72:73], s[14:15], v[152:153]
	v_fma_f64 v[110:111], v[72:73], s[14:15], -v[152:153]
	v_fma_f64 v[68:69], v[72:73], s[34:35], v[140:141]
	v_fma_f64 v[134:135], v[72:73], s[34:35], -v[140:141]
	v_fma_f64 v[38:39], v[72:73], s[8:9], -v[144:145]
	v_add_f64_e32 v[46:47], v[46:47], v[156:157]
	v_add_f64_e32 v[4:5], v[10:11], v[4:5]
	v_add_f64_e32 v[2:3], v[6:7], v[2:3]
	v_add_f64_e32 v[6:7], v[58:59], v[22:23]
	v_fma_f64 v[10:11], v[72:73], s[8:9], v[144:145]
	v_fma_f64 v[22:23], v[76:77], s[0:1], v[146:147]
	;; [unrolled: 1-line block ×4, first 2 shown]
	v_add_f64_e32 v[12:13], v[60:61], v[20:21]
	v_add_f64_e32 v[20:21], v[124:125], v[30:31]
	;; [unrolled: 1-line block ×8, first 2 shown]
	v_fma_f64 v[94:95], v[72:73], s[26:27], -v[148:149]
	v_fma_f64 v[72:73], v[72:73], s[20:21], -v[78:79]
	v_add_f64_e32 v[40:41], v[40:41], v[18:19]
	v_add_f64_e32 v[78:79], v[128:129], v[84:85]
	;; [unrolled: 1-line block ×3, first 2 shown]
	s_mul_u64 s[0:1], s[4:5], 0xa50
	v_add_f64_e32 v[14:15], v[64:65], v[14:15]
	v_add_f64_e32 v[64:65], v[66:67], v[8:9]
	;; [unrolled: 1-line block ×17, first 2 shown]
	scratch_load_b64 v[28:29], off, off offset:164 th:TH_LOAD_LU ; 8-byte Folded Reload
	v_add_f64_e32 v[16:17], v[54:55], v[24:25]
	v_add_f64_e32 v[54:55], v[114:115], v[32:33]
	scratch_load_b32 v32, off, off offset:144 th:TH_LOAD_LU ; 4-byte Folded Reload
	v_add_f64_e32 v[20:21], v[94:95], v[40:41]
	v_add_f64_e32 v[12:13], v[38:39], v[78:79]
	;; [unrolled: 1-line block ×14, first 2 shown]
	ds_store_b128 v255, v[8:11] offset:5280
	ds_store_b128 v255, v[16:19] offset:7920
	;; [unrolled: 1-line block ×9, first 2 shown]
	ds_store_b128 v255, v[50:53]
	ds_store_b128 v255, v[0:3] offset:2640
	global_wb scope:SCOPE_SE
	s_wait_loadcnt_dscnt 0x0
	s_barrier_signal -1
	s_barrier_wait -1
	global_inv scope:SCOPE_SE
	ds_load_b128 v[0:3], v255
	ds_load_b128 v[4:7], v255 offset:2640
	ds_load_b128 v[8:11], v255 offset:5280
	;; [unrolled: 1-line block ×5, first 2 shown]
	v_mov_b32_e32 v33, v28
	v_mad_co_u64_u32 v[30:31], null, s4, v32, 0
	s_delay_alu instid0(VALU_DEP_2) | instskip(NEXT) | instid1(VALU_DEP_2)
	v_mad_co_u64_u32 v[28:29], null, s6, v33, 0
	v_mad_co_u64_u32 v[31:32], null, s5, v32, v[31:32]
	s_delay_alu instid0(VALU_DEP_2) | instskip(NEXT) | instid1(VALU_DEP_2)
	v_mad_co_u64_u32 v[24:25], null, s7, v33, v[29:30]
	v_lshlrev_b64_e32 v[30:31], 4, v[30:31]
	s_delay_alu instid0(VALU_DEP_2)
	v_mov_b32_e32 v29, v24
	ds_load_b128 v[24:27], v255 offset:15840
	ds_load_b128 v[44:47], v255 offset:18480
	;; [unrolled: 1-line block ×5, first 2 shown]
	s_clause 0x1
	scratch_load_b128 v[96:99], off, off offset:48 th:TH_LOAD_LU
	scratch_load_b128 v[116:119], off, off offset:204 th:TH_LOAD_LU
	v_lshlrev_b64_e32 v[28:29], 4, v[28:29]
	s_delay_alu instid0(VALU_DEP_1) | instskip(SKIP_1) | instid1(VALU_DEP_2)
	v_add_co_u32 v28, vcc_lo, s2, v28
	s_wait_alu 0xfffd
	v_add_co_ci_u32_e32 v29, vcc_lo, s3, v29, vcc_lo
	s_mov_b32 s2, 0x953a4099
	s_delay_alu instid0(VALU_DEP_2) | instskip(SKIP_1) | instid1(VALU_DEP_2)
	v_add_co_u32 v92, vcc_lo, v28, v30
	s_wait_alu 0xfffd
	v_add_co_ci_u32_e32 v93, vcc_lo, v29, v31, vcc_lo
	s_mov_b32 s3, 0x3f420dd2
	s_wait_alu 0xfffe
	v_add_co_u32 v94, vcc_lo, v92, s0
	s_wait_alu 0xfffd
	v_add_co_ci_u32_e32 v95, vcc_lo, s1, v93, vcc_lo
	s_wait_loadcnt_dscnt 0x10a
	v_mul_f64_e32 v[32:33], v[98:99], v[2:3]
	v_mul_f64_e32 v[34:35], v[98:99], v[0:1]
	scratch_load_b128 v[98:101], off, off offset:64 th:TH_LOAD_LU ; 16-byte Folded Reload
	s_wait_loadcnt_dscnt 0x102
	v_mul_f64_e32 v[80:81], v[118:119], v[50:51]
	v_mul_f64_e32 v[82:83], v[118:119], v[48:49]
	scratch_load_b128 v[118:121], off, off offset:220 th:TH_LOAD_LU ; 16-byte Folded Reload
	v_fma_f64 v[0:1], v[96:97], v[0:1], v[32:33]
	v_fma_f64 v[2:3], v[96:97], v[2:3], -v[34:35]
	v_fma_f64 v[32:33], v[116:117], v[48:49], v[80:81]
	v_fma_f64 v[34:35], v[116:117], v[50:51], -v[82:83]
	s_delay_alu instid0(VALU_DEP_4) | instskip(NEXT) | instid1(VALU_DEP_4)
	v_mul_f64_e32 v[0:1], s[2:3], v[0:1]
	v_mul_f64_e32 v[2:3], s[2:3], v[2:3]
	s_delay_alu instid0(VALU_DEP_4) | instskip(NEXT) | instid1(VALU_DEP_4)
	v_mul_f64_e32 v[32:33], s[2:3], v[32:33]
	v_mul_f64_e32 v[34:35], s[2:3], v[34:35]
	s_wait_loadcnt 0x1
	v_mul_f64_e32 v[36:37], v[100:101], v[6:7]
	v_mul_f64_e32 v[38:39], v[100:101], v[4:5]
	scratch_load_b128 v[100:103], off, off offset:80 th:TH_LOAD_LU ; 16-byte Folded Reload
	s_wait_loadcnt_dscnt 0x100
	v_mul_f64_e32 v[88:89], v[120:121], v[58:59]
	v_mul_f64_e32 v[90:91], v[120:121], v[56:57]
	v_fma_f64 v[4:5], v[98:99], v[4:5], v[36:37]
	v_fma_f64 v[6:7], v[98:99], v[6:7], -v[38:39]
	s_delay_alu instid0(VALU_DEP_2) | instskip(NEXT) | instid1(VALU_DEP_2)
	v_mul_f64_e32 v[4:5], s[2:3], v[4:5]
	v_mul_f64_e32 v[6:7], s[2:3], v[6:7]
	s_wait_loadcnt 0x0
	v_mul_f64_e32 v[40:41], v[102:103], v[10:11]
	v_mul_f64_e32 v[42:43], v[102:103], v[8:9]
	scratch_load_b128 v[102:105], off, off offset:96 th:TH_LOAD_LU ; 16-byte Folded Reload
	v_fma_f64 v[8:9], v[100:101], v[8:9], v[40:41]
	v_fma_f64 v[10:11], v[100:101], v[10:11], -v[42:43]
	v_fma_f64 v[40:41], v[118:119], v[56:57], v[88:89]
	v_fma_f64 v[42:43], v[118:119], v[58:59], -v[90:91]
	s_delay_alu instid0(VALU_DEP_4) | instskip(NEXT) | instid1(VALU_DEP_4)
	v_mul_f64_e32 v[8:9], s[2:3], v[8:9]
	v_mul_f64_e32 v[10:11], s[2:3], v[10:11]
	s_delay_alu instid0(VALU_DEP_4) | instskip(NEXT) | instid1(VALU_DEP_4)
	v_mul_f64_e32 v[40:41], s[2:3], v[40:41]
	v_mul_f64_e32 v[42:43], s[2:3], v[42:43]
	s_wait_loadcnt 0x0
	v_mul_f64_e32 v[60:61], v[104:105], v[14:15]
	v_mul_f64_e32 v[62:63], v[104:105], v[12:13]
	scratch_load_b128 v[104:107], off, off offset:112 th:TH_LOAD_LU ; 16-byte Folded Reload
	v_fma_f64 v[12:13], v[102:103], v[12:13], v[60:61]
	v_fma_f64 v[14:15], v[102:103], v[14:15], -v[62:63]
	s_delay_alu instid0(VALU_DEP_2) | instskip(NEXT) | instid1(VALU_DEP_2)
	v_mul_f64_e32 v[12:13], s[2:3], v[12:13]
	v_mul_f64_e32 v[14:15], s[2:3], v[14:15]
	s_wait_loadcnt 0x0
	v_mul_f64_e32 v[64:65], v[106:107], v[18:19]
	v_mul_f64_e32 v[66:67], v[106:107], v[16:17]
	scratch_load_b128 v[106:109], off, off offset:128 th:TH_LOAD_LU ; 16-byte Folded Reload
	v_fma_f64 v[16:17], v[104:105], v[16:17], v[64:65]
	v_fma_f64 v[18:19], v[104:105], v[18:19], -v[66:67]
	s_delay_alu instid0(VALU_DEP_2) | instskip(NEXT) | instid1(VALU_DEP_2)
	;; [unrolled: 9-line block ×4, first 2 shown]
	v_mul_f64_e32 v[24:25], s[2:3], v[24:25]
	v_mul_f64_e32 v[26:27], s[2:3], v[26:27]
	s_wait_loadcnt 0x0
	v_mul_f64_e32 v[76:77], v[112:113], v[46:47]
	v_mul_f64_e32 v[78:79], v[112:113], v[44:45]
	scratch_load_b128 v[112:115], off, off offset:188 th:TH_LOAD_LU ; 16-byte Folded Reload
	v_fma_f64 v[28:29], v[110:111], v[44:45], v[76:77]
	v_fma_f64 v[30:31], v[110:111], v[46:47], -v[78:79]
	v_add_co_u32 v44, vcc_lo, v94, s0
	s_wait_alu 0xfffd
	v_add_co_ci_u32_e32 v45, vcc_lo, s1, v95, vcc_lo
	s_delay_alu instid0(VALU_DEP_2) | instskip(SKIP_1) | instid1(VALU_DEP_2)
	v_add_co_u32 v46, vcc_lo, v44, s0
	s_wait_alu 0xfffd
	v_add_co_ci_u32_e32 v47, vcc_lo, s1, v45, vcc_lo
	s_delay_alu instid0(VALU_DEP_2) | instskip(SKIP_1) | instid1(VALU_DEP_2)
	;; [unrolled: 4-line block ×3, first 2 shown]
	v_add_co_u32 v50, vcc_lo, v48, s0
	s_wait_alu 0xfffd
	v_add_co_ci_u32_e32 v51, vcc_lo, s1, v49, vcc_lo
	v_mul_f64_e32 v[28:29], s[2:3], v[28:29]
	v_mul_f64_e32 v[30:31], s[2:3], v[30:31]
	s_wait_loadcnt 0x0
	v_mul_f64_e32 v[84:85], v[114:115], v[54:55]
	v_mul_f64_e32 v[86:87], v[114:115], v[52:53]
	s_delay_alu instid0(VALU_DEP_2) | instskip(NEXT) | instid1(VALU_DEP_2)
	v_fma_f64 v[36:37], v[112:113], v[52:53], v[84:85]
	v_fma_f64 v[38:39], v[112:113], v[54:55], -v[86:87]
	v_add_co_u32 v52, vcc_lo, v50, s0
	s_wait_alu 0xfffd
	v_add_co_ci_u32_e32 v53, vcc_lo, s1, v51, vcc_lo
	s_delay_alu instid0(VALU_DEP_2) | instskip(SKIP_1) | instid1(VALU_DEP_2)
	v_add_co_u32 v54, vcc_lo, v52, s0
	s_wait_alu 0xfffd
	v_add_co_ci_u32_e32 v55, vcc_lo, s1, v53, vcc_lo
	s_delay_alu instid0(VALU_DEP_2) | instskip(SKIP_1) | instid1(VALU_DEP_2)
	;; [unrolled: 4-line block ×4, first 2 shown]
	v_add_co_u32 v60, vcc_lo, v58, s0
	s_wait_alu 0xfffd
	v_add_co_ci_u32_e32 v61, vcc_lo, s1, v59, vcc_lo
	v_mul_f64_e32 v[36:37], s[2:3], v[36:37]
	v_mul_f64_e32 v[38:39], s[2:3], v[38:39]
	s_clause 0x4
	global_store_b128 v[92:93], v[0:3], off
	global_store_b128 v[94:95], v[4:7], off
	;; [unrolled: 1-line block ×11, first 2 shown]
.LBB0_18:
	s_nop 0
	s_sendmsg sendmsg(MSG_DEALLOC_VGPRS)
	s_endpgm
	.section	.rodata,"a",@progbits
	.p2align	6, 0x0
	.amdhsa_kernel bluestein_single_fwd_len1815_dim1_dp_op_CI_CI
		.amdhsa_group_segment_fixed_size 29040
		.amdhsa_private_segment_fixed_size 280
		.amdhsa_kernarg_size 104
		.amdhsa_user_sgpr_count 2
		.amdhsa_user_sgpr_dispatch_ptr 0
		.amdhsa_user_sgpr_queue_ptr 0
		.amdhsa_user_sgpr_kernarg_segment_ptr 1
		.amdhsa_user_sgpr_dispatch_id 0
		.amdhsa_user_sgpr_private_segment_size 0
		.amdhsa_wavefront_size32 1
		.amdhsa_uses_dynamic_stack 0
		.amdhsa_enable_private_segment 1
		.amdhsa_system_sgpr_workgroup_id_x 1
		.amdhsa_system_sgpr_workgroup_id_y 0
		.amdhsa_system_sgpr_workgroup_id_z 0
		.amdhsa_system_sgpr_workgroup_info 0
		.amdhsa_system_vgpr_workitem_id 0
		.amdhsa_next_free_vgpr 256
		.amdhsa_next_free_sgpr 40
		.amdhsa_reserve_vcc 1
		.amdhsa_float_round_mode_32 0
		.amdhsa_float_round_mode_16_64 0
		.amdhsa_float_denorm_mode_32 3
		.amdhsa_float_denorm_mode_16_64 3
		.amdhsa_fp16_overflow 0
		.amdhsa_workgroup_processor_mode 1
		.amdhsa_memory_ordered 1
		.amdhsa_forward_progress 0
		.amdhsa_round_robin_scheduling 0
		.amdhsa_exception_fp_ieee_invalid_op 0
		.amdhsa_exception_fp_denorm_src 0
		.amdhsa_exception_fp_ieee_div_zero 0
		.amdhsa_exception_fp_ieee_overflow 0
		.amdhsa_exception_fp_ieee_underflow 0
		.amdhsa_exception_fp_ieee_inexact 0
		.amdhsa_exception_int_div_zero 0
	.end_amdhsa_kernel
	.text
.Lfunc_end0:
	.size	bluestein_single_fwd_len1815_dim1_dp_op_CI_CI, .Lfunc_end0-bluestein_single_fwd_len1815_dim1_dp_op_CI_CI
                                        ; -- End function
	.section	.AMDGPU.csdata,"",@progbits
; Kernel info:
; codeLenInByte = 19632
; NumSgprs: 42
; NumVgprs: 256
; ScratchSize: 280
; MemoryBound: 0
; FloatMode: 240
; IeeeMode: 1
; LDSByteSize: 29040 bytes/workgroup (compile time only)
; SGPRBlocks: 5
; VGPRBlocks: 31
; NumSGPRsForWavesPerEU: 42
; NumVGPRsForWavesPerEU: 256
; Occupancy: 5
; WaveLimiterHint : 1
; COMPUTE_PGM_RSRC2:SCRATCH_EN: 1
; COMPUTE_PGM_RSRC2:USER_SGPR: 2
; COMPUTE_PGM_RSRC2:TRAP_HANDLER: 0
; COMPUTE_PGM_RSRC2:TGID_X_EN: 1
; COMPUTE_PGM_RSRC2:TGID_Y_EN: 0
; COMPUTE_PGM_RSRC2:TGID_Z_EN: 0
; COMPUTE_PGM_RSRC2:TIDIG_COMP_CNT: 0
	.text
	.p2alignl 7, 3214868480
	.fill 96, 4, 3214868480
	.type	__hip_cuid_6c8b26da56e41f8d,@object ; @__hip_cuid_6c8b26da56e41f8d
	.section	.bss,"aw",@nobits
	.globl	__hip_cuid_6c8b26da56e41f8d
__hip_cuid_6c8b26da56e41f8d:
	.byte	0                               ; 0x0
	.size	__hip_cuid_6c8b26da56e41f8d, 1

	.ident	"AMD clang version 19.0.0git (https://github.com/RadeonOpenCompute/llvm-project roc-6.4.0 25133 c7fe45cf4b819c5991fe208aaa96edf142730f1d)"
	.section	".note.GNU-stack","",@progbits
	.addrsig
	.addrsig_sym __hip_cuid_6c8b26da56e41f8d
	.amdgpu_metadata
---
amdhsa.kernels:
  - .args:
      - .actual_access:  read_only
        .address_space:  global
        .offset:         0
        .size:           8
        .value_kind:     global_buffer
      - .actual_access:  read_only
        .address_space:  global
        .offset:         8
        .size:           8
        .value_kind:     global_buffer
      - .actual_access:  read_only
        .address_space:  global
        .offset:         16
        .size:           8
        .value_kind:     global_buffer
      - .actual_access:  read_only
        .address_space:  global
        .offset:         24
        .size:           8
        .value_kind:     global_buffer
      - .actual_access:  read_only
        .address_space:  global
        .offset:         32
        .size:           8
        .value_kind:     global_buffer
      - .offset:         40
        .size:           8
        .value_kind:     by_value
      - .address_space:  global
        .offset:         48
        .size:           8
        .value_kind:     global_buffer
      - .address_space:  global
        .offset:         56
        .size:           8
        .value_kind:     global_buffer
      - .address_space:  global
        .offset:         64
        .size:           8
        .value_kind:     global_buffer
      - .address_space:  global
        .offset:         72
        .size:           8
        .value_kind:     global_buffer
      - .offset:         80
        .size:           4
        .value_kind:     by_value
      - .address_space:  global
        .offset:         88
        .size:           8
        .value_kind:     global_buffer
      - .address_space:  global
        .offset:         96
        .size:           8
        .value_kind:     global_buffer
    .group_segment_fixed_size: 29040
    .kernarg_segment_align: 8
    .kernarg_segment_size: 104
    .language:       OpenCL C
    .language_version:
      - 2
      - 0
    .max_flat_workgroup_size: 165
    .name:           bluestein_single_fwd_len1815_dim1_dp_op_CI_CI
    .private_segment_fixed_size: 280
    .sgpr_count:     42
    .sgpr_spill_count: 0
    .symbol:         bluestein_single_fwd_len1815_dim1_dp_op_CI_CI.kd
    .uniform_work_group_size: 1
    .uses_dynamic_stack: false
    .vgpr_count:     256
    .vgpr_spill_count: 81
    .wavefront_size: 32
    .workgroup_processor_mode: 1
amdhsa.target:   amdgcn-amd-amdhsa--gfx1201
amdhsa.version:
  - 1
  - 2
...

	.end_amdgpu_metadata
